;; amdgpu-corpus repo=ROCm/rocm-libraries kind=harvested arch=n/a opt=n/a
/*******************************************************************************
 *
 * MIT License
 *
 * Copyright (c) 2020-2021 Advanced Micro Devices, Inc.
 *
 * Permission is hereby granted, free of charge, to any person obtaining a copy
 * of this software and associated documentation files (the "Software"), to deal
 * in the Software without restriction, including without limitation the rights
 * to use, copy, modify, merge, publish, distribute, sublicense, and/or sell
 * copies of the Software, and to permit persons to whom the Software is
 * furnished to do so, subject to the following conditions:
 *
 * The above copyright notice and this permission notice shall be included in all
 * copies or substantial portions of the Software.
 *
 * THE SOFTWARE IS PROVIDED "AS IS", WITHOUT WARRANTY OF ANY KIND, EXPRESS OR
 * IMPLIED, INCLUDING BUT NOT LIMITED TO THE WARRANTIES OF MERCHANTABILITY,
 * FITNESS FOR A PARTICULAR PURPOSE AND NONINFRINGEMENT. IN NO EVENT SHALL THE
 * AUTHORS OR COPYRIGHT HOLDERS BE LIABLE FOR ANY CLAIM, DAMAGES OR OTHER
 * LIABILITY, WHETHER IN AN ACTION OF CONTRACT, TORT OR OTHERWISE, ARISING FROM,
 * OUT OF OR IN CONNECTION WITH THE SOFTWARE OR THE USE OR OTHER DEALINGS IN THE
 * SOFTWARE.
 *
 *******************************************************************************/
; generated by igemm_codegen.py (7c7019d4ff9d424c77959525d6f05af84cc83baf)
;
.include "igemm_bwd_gtcx35_nhwc_fp32_utils.inc"

;----------------------------------------------------------
; starting of kernel igemm_bwd_gtcx35_nhwc_fp32_bx0_ex1_bt256x32x4_wt64x32x1_ws1x1_wr2x1_ta1x1x8x1_1x4x1x32_tb1x1x1x1_1x4x1x32_mh_me
; tensor_layout              : 'nhwc'
; gemm_m_per_block           : 256
; gemm_n_per_block           : 32
; gemm_k_per_block           : 4
; wave_tile_m                : 64
; wave_step_m                : 1
; wave_repeat_m              : 2
; wave_tile_n                : 32
; wave_step_n                : 1
; wave_repeat_n              : 1
; wave_tile_k                : 1
; tensor_a_thread_lengths    : [1, 1, 8, 1]
; tensor_a_cluster_lengths   : [1, 4, 1, 32]
; tensor_b_thread_lengths    : [1, 1, 1, 1]
; tensor_b_cluster_lengths   : [1, 4, 1, 32]
; direction                  : 'bwd'
; precision                  : 'fp32'
; nxb                        : 0
; nxe                        : 1
; merge_e                    : 1
; vector_c                   : 1
; 
; block_size                 : 128
; lds_total                  : 8192
; lds_buffer_num             : 1
; 
.set k_p_in, 0
.set k_p_wei, 8
.set k_p_out, 16
.set k_hi, 24
.set k_wi, 28
.set k_n, 32
.set k_k, 36
.set k_c, 40
.set k_ho, 44
.set k_wo, 48
.set k_stride_h, 52
.set k_stride_w, 56
.set k_dilation_h, 60
.set k_dilation_w, 64
.set k_pad_h, 68
.set k_pad_w, 72
.set k_y, 76
.set k_x, 80
.set k_dtile_iy, 84
.set k_dtile_ix, 88
.set k_dtile_dy, 92
.set k_dtile_dx, 96
.set k_dtile_y, 100
.set k_dtile_x, 104
.set k_dtile_h, 108
.set k_dtile_w, 112
.set k_dslice_y, 116
.set k_dslice_x, 120
.set k_dslice_h, 124
.set k_dslice_w, 128
.set k_dslice_h_left, 132
.set k_dslice_w_left, 136
.set k_group, 140
.set k_magic_0, 144
.set k_magic_1, 148
.set k_magic_2, 152
.set k_magic_3, 156
.set k_shift_pack_0, 160
.set k__pack_0, 164
.set k_end, 168
.set k_gload_out_k_stride, 4
.set k_gload_wei_c_stride, 0

.set s_ka, 0
.set s_bx, 2
.set s_by, 3
.set s_p_in, 4
.set s_p_wei, 8
.set s_p_out, 12
.set s_hi, 16
.set s_wi, 17
.set s_n, 18
.set s_k, 19
.set s_c, 20
.set s_ho, 21
.set s_wo, 22
.set s_stride_h, 23
.set s_stride_w, 24
.set s_dilation_h, 25
.set s_dilation_w, 26
.set s_pad_h, 27
.set s_pad_w, 28
.set s_y, 29
.set s_x, 30
.set s_dtile_iy, 31
.set s_dtile_ix, 32
.set s_dtile_dy, 33
.set s_dtile_dx, 34
.set s_dtile_y, 35
.set s_dtile_x, 36
.set s_dtile_h, 37
.set s_dtile_w, 38
.set s_dslice_y, 39
.set s_dslice_x, 40
.set s_dslice_h, 41
.set s_dslice_w, 42
.set s_dslice_h_left, 43
.set s_dslice_w_left, 44
.set s_group, 45
.set s_magic_0, 6
.set s_magic_1, 7
.set s_magic_2, 46
.set s_magic_3, 47
.set s_shift_m2, 37
.set s_shift_m3, 38
.set s_out_stride_wo, 48
.set s_out_stride_n, 49
.set s_wei_stride_k, 50
.set s_in_stride_wi, 51
.set s_in_stride_n, 52
.set s_block_gtc_ig, 53
.set s_block_gtc_ic, 54
.set s_block_gtc_inb, 55
.set s_k_padded, 56
.set s_knum, 3
.set s_dim_br, 57
.set s_dim_mp, 58
.set s_dim_mr, 59
.set s_dim_np, 60
.set s_k_dsy_dsx, 3
.set s_move_slice_k_dsx, 61
.set s_move_slice_k_dsy, 62
.set s_move_slice_k_k, 63
.set s_diff_out_os_acc_k_dsy_dsx, 64
.set s_diff_out_os_ovf_dsx_acc_dsy, 65
.set s_diff_out_os_ovf_dsy_acc_k, 66
.set s_diff_wei_os_acc_k_dsy_dsx, 67
.set s_diff_wei_os_ovf_dsx_acc_dsy, 68
.set s_diff_wei_os_ovf_dsy_acc_k, 69
.set s_diff_out_iwo_acc_dsx, 70
.set s_diff_out_iwo_ovf_dsx, 71
.set s_diff_out_iho_acc_dsy, 58
.set s_diff_out_iho_ovf_dsy, 60
.set s_move_slice_k_dsx_dsy, 61
.set s_diff_ix_iy_acc_ix, 62
.set s_dslice_x_hi16, 40
.set s_shift_pack_0, 71
.set s_kitr, 1
.set s_out_offset, 72
.set s_in_hi_sshift, 73
.set s_in_wi_sshift, 74
.set s_tmp, 76
.set s_end, 82

.set v_c, 0  ; coalescing:16, needed:0, resuable:17
.set v_a, 0
.set v_b, 4
.set v_gld_a, 6
.set v_gld_b, 14
.set v_sst_a_os, 15
.set v_sld_a_os, 16
.set v_sst_b_os, 17
.set v_sld_b_os, 18
.set v_out_os, 19
.set v_out_iho_list, 27
.set v_out_iwo_list, 35
.set v_out_flag, 43
.set v_out_flag_n, 51
.set v_out_ik, 52
.set v_wei_ike_itr, 53
.set v_out_ike_itr, 54
.set v_out_dslice_iy_itr, 15
.set v_out_dslice_ix_itr, 16
.set v_wei_dslice_iy_itr, 17
.set v_wei_dslice_ix_itr, 18
.set v_out_dslice_ix_iy_itr, 55
.set v_wei_dslice_ix_iy_itr, 56
.set v_out_inb, 57
.set v_out_in, 58
.set v_wei_os, 59
.set v_wei_ic, 60
.set v_wei_ik, 61
.set v_in_os, 16
.set v_in_in, 17
.set v_in_ihi, 18
.set v_in_iwi, 19
.set v_in_flag, 20
.set v_in_flag_c, 60
.set v_in_inb, 57
.set v_co_sst, 58
.set v_co_sld, 62
.set v_gemm_in, 63
.set v_gemm_im, 64
.set v_co_sub_m_index, 64
.set v_co_sub_n_index, 63
.set v_tmp, 66
.set v_wei_tmp_pack, 5
.set v_wei_flag, 72
.set v_out_os_diff, 52
.set v_out_iho_diff, 61
.set v_out_iwo_diff, 70
.set v_wei_os_diff, 71
.set v_in_hi_sshift, 70
.set v_in_wi_sshift, 71
.set v_end, 140

.set a_c, 76
.set a_end, 140

.text
.globl igemm_bwd_gtcx35_nhwc_fp32_bx0_ex1_bt256x32x4_wt64x32x1_ws1x1_wr2x1_ta1x1x8x1_1x4x1x32_tb1x1x1x1_1x4x1x32_mh_me
.p2align 8
.type igemm_bwd_gtcx35_nhwc_fp32_bx0_ex1_bt256x32x4_wt64x32x1_ws1x1_wr2x1_ta1x1x8x1_1x4x1x32_tb1x1x1x1_1x4x1x32_mh_me,@function
igemm_bwd_gtcx35_nhwc_fp32_bx0_ex1_bt256x32x4_wt64x32x1_ws1x1_wr2x1_ta1x1x8x1_1x4x1x32_tb1x1x1x1_1x4x1x32_mh_me:
    s_load_dwordx2  s[s_p_in+0:s_p_in+1],       s[s_ka+0:s_ka+1],    0+k_p_in
    s_load_dwordx2  s[s_p_wei+0:s_p_wei+1],      s[s_ka+0:s_ka+1],    0+k_p_wei
    s_load_dwordx2  s[s_p_out+0:s_p_out+1],      s[s_ka+0:s_ka+1],    0+k_p_out
    s_load_dwordx16 s[s_hi+0:s_hi+15],        s[s_ka+0:s_ka+1],    0+k_hi
    s_load_dwordx8  s[s_dtile_ix+0:s_dtile_ix+7],   s[s_ka+0:s_ka+1],    0+k_dtile_ix
    s_load_dwordx4  s[s_dslice_x+0:s_dslice_x+3],   s[s_ka+0:s_ka+1],    0+k_dslice_x
    s_load_dwordx2  s[s_dslice_w_left+0:s_dslice_w_left+1],   s[s_ka+0:s_ka+1],    0+k_dslice_w_left
    s_load_dwordx2 s[s_magic_0+0:s_magic_0+1],  s[s_ka+0:s_ka+1],  0+k_magic_0
    s_load_dwordx2 s[s_magic_2+0:s_magic_2+1],  s[s_ka+0:s_ka+1],  0+k_magic_2
    s_load_dword s[s_shift_pack_0], s[s_ka+0:s_ka+1],  0+k_shift_pack_0
    ; out(e, k, nb0, nb1) thread_lengths: 1x1x8x1, cluster_length: 1x4x1x32, k_pack:1
    ; wei(e, k, c0, c1) thread_length: 1x1x1x1, cluster_length: 1x4x1x32, k_pack:1
    v_mov_b32 v[v_tmp], v0
    v_and_b32 v[v_out_ike_itr], 3, v[v_tmp]
    v_lshrrev_b32 v[v_tmp], 2, v[v_tmp]
    v_and_b32 v[v_out_inb], 31, v[v_tmp]
    v_mov_b32 v[v_tmp], v0
    v_and_b32 v[v_wei_ic], 31, v[v_tmp]
    v_lshrrev_b32 v[v_tmp], 5, v[v_tmp]
    v_and_b32 v[v_wei_ike_itr], 3, v[v_tmp]

    s_waitcnt lgkmcnt(0)

    ; calculate index
    s_mul_i32 s[s_out_stride_wo], s[s_k], s[s_group]
    s_mul_i32 s[s_tmp+2], s[s_wo], s[s_out_stride_wo]
    s_mul_i32 s[s_out_stride_n], s[s_ho], s[s_tmp+2]
    s_mul_i32 s[s_tmp], s[s_x], s[s_c]
    s_mul_i32 s[s_wei_stride_k], s[s_tmp], s[s_y]
    s_mul_i32 s[s_in_stride_wi], s[s_c], s[s_group]
    s_mul_i32 s[s_tmp+1], s[s_wi], s[s_in_stride_wi]
    s_mul_i32 s[s_in_stride_n], s[s_hi], s[s_tmp+1]
    s_mul_i32  s[s_tmp], s[s_n], s[s_in_stride_n]
    s_mul_i32  s[s_tmp+1], s[s_n], s[s_out_stride_n]
    s_lshl_b32 s[s_tmp+4], s[s_tmp], 2
    s_lshl_b32 s[s_tmp+5], s[s_tmp+1], 2
    s_mul_i32 s[s_tmp], s[s_by], s[s_tmp+4]
    s_mul_hi_u32 s[s_tmp+1], s[s_by], s[s_tmp+4]
    s_add_u32 s[s_p_in], s[s_p_in], s[s_tmp]
    s_addc_u32 s[s_p_in+1], s[s_p_in+1], s[s_tmp+1]
    s_mul_i32 s[s_tmp], s[s_by], s[s_tmp+5]
    s_mul_hi_u32 s[s_tmp+1], s[s_by], s[s_tmp+5]
    s_add_u32 s[s_p_out], s[s_p_out], s[s_tmp]
    s_addc_u32 s[s_p_out+1], s[s_p_out+1], s[s_tmp+1]
    s_mul_i32 s[s_dim_br], s[s_dslice_h], s[s_dslice_w]
    s_mul_i32 s[s_dim_mr], s[s_n], s[s_dim_br]
    s_add_u32 s[s_tmp], 255, s[s_dim_mr]
    s_lshr_b32 s[s_tmp+1], s[s_tmp], 8
    s_lshl_b32 s[s_dim_mp], s[s_tmp+1], 8
    s_add_u32 s[s_tmp], 31, s[s_c]
    s_lshr_b32 s[s_tmp+1], s[s_tmp], 5
    s_lshl_b32 s[s_dim_np], s[s_tmp+1], 5

    ; gemm_m_per_block:256, gemm_n_per_block:32, source_access_order:0
    s_lshr_b32 s[s_tmp], s[s_dim_mp], 8
    s_lshr_b32 s[s_tmp+1], s[s_dim_np], 5
    s_mul_i32 s[0], s[s_tmp+1], s[s_tmp]
    ; multihead dispatch code start
    s_mul_i32 s[s_tmp], s[s_dtile_y], s[s_dtile_x]
    s_cmp_eq_u32  1,  s[s_tmp]
    s_cbranch_scc1 L_igemm_bwd_gtcx35_nhwc_fp32_bx0_ex1_bt256x32x4_wt64x32x1_ws1x1_wr2x1_ta1x1x8x1_1x4x1x32_tb1x1x1x1_1x4x1x32_mh_me_mh_dispatch_end
    s_mul_i32 s[s_tmp+2], s[0], s[s_group]
    .mdiv_u32_rem_ss s_tmp+4,s_tmp+5,s_bx,s_dtile_h,s_dtile_w,s_tmp+2,s_tmp
    s_mov_b32 s[s_bx], s[s_tmp+4]
    .mdiv_u32_rem_ss s_tmp+3,s_tmp+4,s_tmp+5,s_dtile_iy,s_dtile_ix,s_dtile_x,s_tmp
    s_add_u32 s[s_tmp+5], s[s_y], s[s_dtile_y]
    s_sub_u32 s[s_tmp+5], s[s_tmp+5], s[s_tmp+4]
    s_sub_u32 s[s_tmp+5], s[s_tmp+5], 1
    .mdiv_u32_ss s_dslice_y,s_tmp+5,s_dslice_y,s_dslice_x,s_tmp
    s_add_u32 s[s_tmp+5], s[s_x], s[s_dtile_x]
    s_sub_u32 s[s_tmp+5], s[s_tmp+5], s[s_tmp+3]
    s_sub_u32 s[s_tmp+5], s[s_tmp+5], 1
    .mdiv_u32_ss s_dslice_x,s_tmp+5,s_dtile_iy,s_dtile_ix,s_tmp
    s_mov_b32 s[s_dtile_iy],  s[s_tmp+4]
    s_mov_b32 s[s_dtile_ix],  s[s_tmp+3]
    s_cmp_lt_u32 s[s_dtile_iy], s[s_y]
    s_cbranch_scc0 L_igemm_bwd_gtcx35_nhwc_fp32_bx0_ex1_bt256x32x4_wt64x32x1_ws1x1_wr2x1_ta1x1x8x1_1x4x1x32_tb1x1x1x1_1x4x1x32_mh_me_out
    s_cmp_lt_u32 s[s_dtile_ix], s[s_x]
    s_cbranch_scc0 L_igemm_bwd_gtcx35_nhwc_fp32_bx0_ex1_bt256x32x4_wt64x32x1_ws1x1_wr2x1_ta1x1x8x1_1x4x1x32_tb1x1x1x1_1x4x1x32_mh_me_out
    ; multihead dispatch code end
L_igemm_bwd_gtcx35_nhwc_fp32_bx0_ex1_bt256x32x4_wt64x32x1_ws1x1_wr2x1_ta1x1x8x1_1x4x1x32_tb1x1x1x1_1x4x1x32_mh_me_mh_dispatch_end:

    s_mul_i32 s[s_tmp], s[s_dslice_x], s[s_dslice_y]
    s_mul_i32 s[s_knum], s[s_tmp], s[s_k]
    s_bfe_u32 s[s_tmp+3], s[s_shift_pack_0], 0x00080008 ; offset:8, width:8
    .mdiv_u32_rem_ss s_tmp+4,s_block_gtc_ig,s_bx,s_magic_1,s_tmp+3,0,s_tmp
    s_mov_b32 s[s_bx], s[s_tmp+4]
    s_lshr_b32 s[0], s[s_dim_np], 5
    s_bfe_u32 s[s_tmp+3], s[s_shift_pack_0], 0x00080000 ; offset:0, width:8
    .mdiv_u32_rem_ss s_tmp+4,s_tmp+5,s_bx,s_magic_0,s_tmp+3,0,s_tmp
    ; s_tmp+4:block_gtc_in, s_tmp+5:block_gtc_im
    s_lshl_b32 s[s_block_gtc_ic], s[s_tmp+4], 5
    s_lshl_b32 s[s_block_gtc_inb], s[s_tmp+5], 8
    v_add_u32 v[v_tmp+5], s[s_block_gtc_inb], v[v_out_inb]
    s_bfe_u32 s[s_shift_m3], s[s_shift_pack_0], 0x00080018 ; offset:24, width:8
    .mdiv_u32_rem_vs v_tmp+4,v_out_in,v_tmp+5,s_magic_3,s_shift_m3,s_dim_br,v_tmp
    s_bfe_u32 s[s_shift_m2], s[s_shift_pack_0], 0x00080010 ; offset:16, width:8
    .mdiv_u32_rem_vs v_out_iwo_list,v_out_iho_list,v_tmp+4,s_magic_2,s_shift_m2,s_dslice_w,v_tmp
    v_add_u32 v[v_out_iho_list], s[s_dslice_h_left], v[v_out_iho_list]
    v_add_u32 v[v_out_iwo_list], s[s_dslice_w_left], v[v_out_iwo_list]

    s_lshl_b32 s[s_block_gtc_ig], s[s_block_gtc_ig], 2
    .v_u32_div_rem_vs v_wei_dslice_ix_itr, v_tmp+4, v_wei_ike_itr, s_dslice_x, v_tmp, s_tmp
    .v_u32_div_rem_vs v_wei_dslice_iy_itr, v_wei_ik, v_tmp+4, s_dslice_y, v_tmp, s_tmp
    ; calculate wei offset
    s_mul_i32 s[s_tmp+2], s[s_k], s[s_wei_stride_k]
    s_mul_i32 s[s_tmp], s[s_block_gtc_ig], s[s_tmp+2]
    s_mul_hi_u32 s[s_tmp+1], s[s_block_gtc_ig], s[s_tmp+2]
    s_add_u32 s[s_p_wei], s[s_p_wei], s[s_tmp]
    s_addc_u32 s[s_p_wei+1], s[s_p_wei+1], s[s_tmp+1]
    v_add_u32 v[v_tmp+5], s[s_block_gtc_ic], v[v_wei_ic]
    s_mul_i32 s[s_tmp], s[s_dtile_iy], s[s_x] 
    v_mul_lo_u32 v[v_tmp+4], s[s_wei_stride_k], v[v_wei_ik]
    s_add_u32 s[s_tmp], s[s_tmp], s[s_dtile_ix]
    v_add_lshl_u32 v[v_wei_os], v[v_tmp+4], v[v_tmp+5], 2
    s_lshl_b32 s[s_tmp+1], s[s_c], 2
    v_mul_u32_u24 v[v_tmp], s[s_dtile_x], v[v_wei_dslice_ix_itr]
    v_mul_u32_u24 v[v_tmp+1], s[s_dtile_y], v[v_wei_dslice_iy_itr]
    v_mad_u32_u24 v[v_tmp+1], v[v_tmp+1], s[s_x], v[v_tmp]
    v_mul_u32_u24 v[v_tmp], s[s_tmp+1], v[v_tmp+1]
    v_add_u32 v[v_wei_os], v[v_tmp], v[v_wei_os]
    v_cmp_gt_u32 vcc, s[s_c], v[v_tmp+5]
    s_mul_i32 s[s_tmp], s[s_tmp], s[s_tmp+1]
    v_cndmask_b32 v[v_wei_flag], 0, 1, vcc
    v_cmp_gt_u32 vcc, s[s_k_dsy_dsx], v[v_wei_ike_itr]
    v_cndmask_b32 v[v_tmp], 0, 1, vcc
    v_and_b32 v[v_wei_flag], v[v_wei_flag], v[v_tmp]
    v_mov_b32 v[v_wei_tmp_pack], v[v_wei_flag]
    v_add_u32 v[v_wei_os], s[s_tmp], v[v_wei_os]


    v_lshl_or_b32 v[v_wei_dslice_ix_iy_itr], v[v_wei_dslice_ix_itr], 16, v[v_wei_dslice_iy_itr]
    .v_clear_nc v_gld_b, 1
    s_mov_b32 s[s_p_wei+2], 0xffffffff
    s_mov_b32 s[s_p_wei+3], 0x27000
    v_cmpx_le_u32 vcc, 1, v[v_wei_flag]
    buffer_load_dword v[v_gld_b], v[v_wei_os], s[s_p_wei:s_p_wei+3], 0 offen offset:0
    s_mov_b64 exec, -1

    .v_u32_div_rem_vs v_out_dslice_ix_itr, v_tmp+4, v_out_ike_itr, s_dslice_x, v_tmp, s_tmp
    .v_u32_div_rem_vs v_out_dslice_iy_itr, v_out_ik, v_tmp+4, s_dslice_y, v_tmp, s_tmp
    v_mul_u32_u24 v[v_tmp+1], s[s_dtile_dy], v[v_out_dslice_iy_itr]
    v_mul_u32_u24 v[v_tmp], s[s_dtile_dx], v[v_out_dslice_ix_itr]
    v_subrev_u32 v[v_out_iho_list], v[v_tmp+1], v[v_out_iho_list]
    v_subrev_u32 v[v_out_iwo_list], v[v_tmp], v[v_out_iwo_list]
    v_cmp_gt_u32 vcc, s[s_n], v[v_out_in]
    v_cndmask_b32 v[v_tmp], 0, 1, vcc
    v_cmp_gt_u32 vcc, s[s_k_dsy_dsx], v[v_out_ike_itr]
    v_cndmask_b32 v[v_tmp+1], 0, 1, vcc
    v_and_b32 v[v_tmp], v[v_tmp+1], v[v_tmp]
    v_lshlrev_b32 v[v_out_flag_n], 0, v[v_tmp]
    ; calculate output offset
    s_mov_b32 s[s_out_offset], 0
    s_mul_i32 s[s_tmp], s[s_block_gtc_ig], s[s_k]
    s_mul_hi_u32 s[s_tmp+1], s[s_block_gtc_ig], s[s_k]
    s_add_u32 s[s_p_out], s[s_p_out], s[s_tmp]
    s_addc_u32 s[s_p_out+1], s[s_p_out+1], s[s_tmp+1]

    v_mul_lo_u32 v[v_tmp+1], s[s_out_stride_n], v[v_out_in]
    s_lshl_b32 s[s_out_stride_wo], s[s_out_stride_wo], 2
    v_add_lshl_u32 v[v_tmp+4], v[v_out_ik], v[v_tmp+1], 2
    v_mul_lo_u32 v[v_tmp], s[s_wo], v[v_out_iho_list]
    v_add_u32 v[v_tmp], v[v_out_iwo_list], v[v_tmp]
    v_mul_lo_u32 v[v_tmp], s[s_out_stride_wo], v[v_tmp]
    v_add_u32 v[v_out_os], v[v_tmp+4], v[v_tmp]
    v_bfe_u32 v[v_tmp+1], v[v_out_flag_n],  0, 1
    v_cmp_gt_u32 vcc, s[s_ho], v[v_out_iho_list]
    v_cndmask_b32 v[v_out_flag], 0, v[v_tmp+1], vcc
    v_cmp_gt_u32 vcc, s[s_wo], v[v_out_iwo_list]
    v_cndmask_b32 v[v_out_flag], 0, v[v_out_flag], vcc

    s_mov_b32 s1, 32
    v_add_u32 v[v_tmp], s1, v[v_out_inb]
    v_add_u32 v[v_tmp+5], s[s_block_gtc_inb], v[v_tmp]
    .mdiv_u32_rem_vs v_tmp+4,v_out_in,v_tmp+5,s_magic_3,s_shift_m3,s_dim_br,v_tmp
    .mdiv_u32_rem_vs v_out_iwo_list+1,v_out_iho_list+1,v_tmp+4,s_magic_2,s_shift_m2,s_dslice_w,v_tmp
    v_add_u32 v[v_out_iho_list+1], s[s_dslice_h_left], v[v_out_iho_list+1]
    v_add_u32 v[v_out_iwo_list+1], s[s_dslice_w_left], v[v_out_iwo_list+1]
    v_mul_u32_u24 v[v_tmp+1], s[s_dtile_dy], v[v_out_dslice_iy_itr]
    v_mul_u32_u24 v[v_tmp], s[s_dtile_dx], v[v_out_dslice_ix_itr]
    v_subrev_u32 v[v_out_iho_list+1], v[v_tmp+1], v[v_out_iho_list+1]
    v_subrev_u32 v[v_out_iwo_list+1], v[v_tmp], v[v_out_iwo_list+1]

    v_mul_lo_u32 v[v_tmp+1], s[s_out_stride_n], v[v_out_in]
    v_add_lshl_u32 v[v_tmp+4], v[v_out_ik], v[v_tmp+1], 2
    v_mul_lo_u32 v[v_tmp], s[s_wo], v[v_out_iho_list+1]
    v_add_u32 v[v_tmp], v[v_out_iwo_list+1], v[v_tmp]
    v_mul_lo_u32 v[v_tmp], s[s_out_stride_wo], v[v_tmp]
    v_add_u32 v[v_out_os+1], v[v_tmp+4], v[v_tmp]
    v_cmp_gt_u32 vcc, s[s_n], v[v_out_in]
    v_cndmask_b32 v[v_tmp], 0, 1, vcc
    v_cmp_gt_u32 vcc, s[s_k_dsy_dsx], v[v_out_ike_itr]
    v_cndmask_b32 v[v_tmp+1], 0, 1, vcc
    v_and_b32 v[v_tmp], v[v_tmp+1], v[v_tmp]
    v_lshl_or_b32 v[v_out_flag_n], v[v_tmp], 1, v[v_out_flag_n]
    v_cmp_gt_u32 vcc, s[s_ho], v[v_out_iho_list+1]
    v_cndmask_b32 v[v_out_flag+1], 0, v[v_tmp], vcc
    v_cmp_gt_u32 vcc, s[s_wo], v[v_out_iwo_list+1]
    v_cndmask_b32 v[v_out_flag+1], 0, v[v_out_flag+1], vcc
    s_mov_b32 s1, 64
    v_add_u32 v[v_tmp], s1, v[v_out_inb]
    v_add_u32 v[v_tmp+5], s[s_block_gtc_inb], v[v_tmp]
    .mdiv_u32_rem_vs v_tmp+4,v_out_in,v_tmp+5,s_magic_3,s_shift_m3,s_dim_br,v_tmp
    .mdiv_u32_rem_vs v_out_iwo_list+2,v_out_iho_list+2,v_tmp+4,s_magic_2,s_shift_m2,s_dslice_w,v_tmp
    v_add_u32 v[v_out_iho_list+2], s[s_dslice_h_left], v[v_out_iho_list+2]
    v_add_u32 v[v_out_iwo_list+2], s[s_dslice_w_left], v[v_out_iwo_list+2]
    v_mul_u32_u24 v[v_tmp+1], s[s_dtile_dy], v[v_out_dslice_iy_itr]
    v_mul_u32_u24 v[v_tmp], s[s_dtile_dx], v[v_out_dslice_ix_itr]
    v_subrev_u32 v[v_out_iho_list+2], v[v_tmp+1], v[v_out_iho_list+2]
    v_subrev_u32 v[v_out_iwo_list+2], v[v_tmp], v[v_out_iwo_list+2]

    v_mul_lo_u32 v[v_tmp+1], s[s_out_stride_n], v[v_out_in]
    v_add_lshl_u32 v[v_tmp+4], v[v_out_ik], v[v_tmp+1], 2
    v_mul_lo_u32 v[v_tmp], s[s_wo], v[v_out_iho_list+2]
    v_add_u32 v[v_tmp], v[v_out_iwo_list+2], v[v_tmp]
    v_mul_lo_u32 v[v_tmp], s[s_out_stride_wo], v[v_tmp]
    v_add_u32 v[v_out_os+2], v[v_tmp+4], v[v_tmp]
    v_cmp_gt_u32 vcc, s[s_n], v[v_out_in]
    v_cndmask_b32 v[v_tmp], 0, 1, vcc
    v_cmp_gt_u32 vcc, s[s_k_dsy_dsx], v[v_out_ike_itr]
    v_cndmask_b32 v[v_tmp+1], 0, 1, vcc
    v_and_b32 v[v_tmp], v[v_tmp+1], v[v_tmp]
    v_lshl_or_b32 v[v_out_flag_n], v[v_tmp], 2, v[v_out_flag_n]
    v_cmp_gt_u32 vcc, s[s_ho], v[v_out_iho_list+2]
    v_cndmask_b32 v[v_out_flag+2], 0, v[v_tmp], vcc
    v_cmp_gt_u32 vcc, s[s_wo], v[v_out_iwo_list+2]
    v_cndmask_b32 v[v_out_flag+2], 0, v[v_out_flag+2], vcc
    s_mov_b32 s1, 96
    v_add_u32 v[v_tmp], s1, v[v_out_inb]
    v_add_u32 v[v_tmp+5], s[s_block_gtc_inb], v[v_tmp]
    .mdiv_u32_rem_vs v_tmp+4,v_out_in,v_tmp+5,s_magic_3,s_shift_m3,s_dim_br,v_tmp
    .mdiv_u32_rem_vs v_out_iwo_list+3,v_out_iho_list+3,v_tmp+4,s_magic_2,s_shift_m2,s_dslice_w,v_tmp
    v_add_u32 v[v_out_iho_list+3], s[s_dslice_h_left], v[v_out_iho_list+3]
    v_add_u32 v[v_out_iwo_list+3], s[s_dslice_w_left], v[v_out_iwo_list+3]
    v_mul_u32_u24 v[v_tmp+1], s[s_dtile_dy], v[v_out_dslice_iy_itr]
    v_mul_u32_u24 v[v_tmp], s[s_dtile_dx], v[v_out_dslice_ix_itr]
    v_subrev_u32 v[v_out_iho_list+3], v[v_tmp+1], v[v_out_iho_list+3]
    v_subrev_u32 v[v_out_iwo_list+3], v[v_tmp], v[v_out_iwo_list+3]

    v_mul_lo_u32 v[v_tmp+1], s[s_out_stride_n], v[v_out_in]
    v_add_lshl_u32 v[v_tmp+4], v[v_out_ik], v[v_tmp+1], 2
    v_mul_lo_u32 v[v_tmp], s[s_wo], v[v_out_iho_list+3]
    v_add_u32 v[v_tmp], v[v_out_iwo_list+3], v[v_tmp]
    v_mul_lo_u32 v[v_tmp], s[s_out_stride_wo], v[v_tmp]
    v_add_u32 v[v_out_os+3], v[v_tmp+4], v[v_tmp]
    v_cmp_gt_u32 vcc, s[s_n], v[v_out_in]
    v_cndmask_b32 v[v_tmp], 0, 1, vcc
    v_cmp_gt_u32 vcc, s[s_k_dsy_dsx], v[v_out_ike_itr]
    v_cndmask_b32 v[v_tmp+1], 0, 1, vcc
    v_and_b32 v[v_tmp], v[v_tmp+1], v[v_tmp]
    v_lshl_or_b32 v[v_out_flag_n], v[v_tmp], 3, v[v_out_flag_n]
    v_cmp_gt_u32 vcc, s[s_ho], v[v_out_iho_list+3]
    v_cndmask_b32 v[v_out_flag+3], 0, v[v_tmp], vcc
    v_cmp_gt_u32 vcc, s[s_wo], v[v_out_iwo_list+3]
    v_cndmask_b32 v[v_out_flag+3], 0, v[v_out_flag+3], vcc
    s_mov_b32 s1, 128
    v_add_u32 v[v_tmp], s1, v[v_out_inb]
    v_add_u32 v[v_tmp+5], s[s_block_gtc_inb], v[v_tmp]
    .mdiv_u32_rem_vs v_tmp+4,v_out_in,v_tmp+5,s_magic_3,s_shift_m3,s_dim_br,v_tmp
    .mdiv_u32_rem_vs v_out_iwo_list+4,v_out_iho_list+4,v_tmp+4,s_magic_2,s_shift_m2,s_dslice_w,v_tmp
    v_add_u32 v[v_out_iho_list+4], s[s_dslice_h_left], v[v_out_iho_list+4]
    v_add_u32 v[v_out_iwo_list+4], s[s_dslice_w_left], v[v_out_iwo_list+4]
    v_mul_u32_u24 v[v_tmp+1], s[s_dtile_dy], v[v_out_dslice_iy_itr]
    v_mul_u32_u24 v[v_tmp], s[s_dtile_dx], v[v_out_dslice_ix_itr]
    v_subrev_u32 v[v_out_iho_list+4], v[v_tmp+1], v[v_out_iho_list+4]
    v_subrev_u32 v[v_out_iwo_list+4], v[v_tmp], v[v_out_iwo_list+4]

    v_mul_lo_u32 v[v_tmp+1], s[s_out_stride_n], v[v_out_in]
    v_add_lshl_u32 v[v_tmp+4], v[v_out_ik], v[v_tmp+1], 2
    v_mul_lo_u32 v[v_tmp], s[s_wo], v[v_out_iho_list+4]
    v_add_u32 v[v_tmp], v[v_out_iwo_list+4], v[v_tmp]
    v_mul_lo_u32 v[v_tmp], s[s_out_stride_wo], v[v_tmp]
    v_add_u32 v[v_out_os+4], v[v_tmp+4], v[v_tmp]
    v_cmp_gt_u32 vcc, s[s_n], v[v_out_in]
    v_cndmask_b32 v[v_tmp], 0, 1, vcc
    v_cmp_gt_u32 vcc, s[s_k_dsy_dsx], v[v_out_ike_itr]
    v_cndmask_b32 v[v_tmp+1], 0, 1, vcc
    v_and_b32 v[v_tmp], v[v_tmp+1], v[v_tmp]
    v_lshl_or_b32 v[v_out_flag_n], v[v_tmp], 4, v[v_out_flag_n]
    v_cmp_gt_u32 vcc, s[s_ho], v[v_out_iho_list+4]
    v_cndmask_b32 v[v_out_flag+4], 0, v[v_tmp], vcc
    v_cmp_gt_u32 vcc, s[s_wo], v[v_out_iwo_list+4]
    v_cndmask_b32 v[v_out_flag+4], 0, v[v_out_flag+4], vcc
    s_mov_b32 s1, 160
    v_add_u32 v[v_tmp], s1, v[v_out_inb]
    v_add_u32 v[v_tmp+5], s[s_block_gtc_inb], v[v_tmp]
    .mdiv_u32_rem_vs v_tmp+4,v_out_in,v_tmp+5,s_magic_3,s_shift_m3,s_dim_br,v_tmp
    .mdiv_u32_rem_vs v_out_iwo_list+5,v_out_iho_list+5,v_tmp+4,s_magic_2,s_shift_m2,s_dslice_w,v_tmp
    v_add_u32 v[v_out_iho_list+5], s[s_dslice_h_left], v[v_out_iho_list+5]
    v_add_u32 v[v_out_iwo_list+5], s[s_dslice_w_left], v[v_out_iwo_list+5]
    v_mul_u32_u24 v[v_tmp+1], s[s_dtile_dy], v[v_out_dslice_iy_itr]
    v_mul_u32_u24 v[v_tmp], s[s_dtile_dx], v[v_out_dslice_ix_itr]
    v_subrev_u32 v[v_out_iho_list+5], v[v_tmp+1], v[v_out_iho_list+5]
    v_subrev_u32 v[v_out_iwo_list+5], v[v_tmp], v[v_out_iwo_list+5]

    v_mul_lo_u32 v[v_tmp+1], s[s_out_stride_n], v[v_out_in]
    v_add_lshl_u32 v[v_tmp+4], v[v_out_ik], v[v_tmp+1], 2
    v_mul_lo_u32 v[v_tmp], s[s_wo], v[v_out_iho_list+5]
    v_add_u32 v[v_tmp], v[v_out_iwo_list+5], v[v_tmp]
    v_mul_lo_u32 v[v_tmp], s[s_out_stride_wo], v[v_tmp]
    v_add_u32 v[v_out_os+5], v[v_tmp+4], v[v_tmp]
    v_cmp_gt_u32 vcc, s[s_n], v[v_out_in]
    v_cndmask_b32 v[v_tmp], 0, 1, vcc
    v_cmp_gt_u32 vcc, s[s_k_dsy_dsx], v[v_out_ike_itr]
    v_cndmask_b32 v[v_tmp+1], 0, 1, vcc
    v_and_b32 v[v_tmp], v[v_tmp+1], v[v_tmp]
    v_lshl_or_b32 v[v_out_flag_n], v[v_tmp], 5, v[v_out_flag_n]
    v_cmp_gt_u32 vcc, s[s_ho], v[v_out_iho_list+5]
    v_cndmask_b32 v[v_out_flag+5], 0, v[v_tmp], vcc
    v_cmp_gt_u32 vcc, s[s_wo], v[v_out_iwo_list+5]
    v_cndmask_b32 v[v_out_flag+5], 0, v[v_out_flag+5], vcc
    s_mov_b32 s1, 192
    v_add_u32 v[v_tmp], s1, v[v_out_inb]
    v_add_u32 v[v_tmp+5], s[s_block_gtc_inb], v[v_tmp]
    .mdiv_u32_rem_vs v_tmp+4,v_out_in,v_tmp+5,s_magic_3,s_shift_m3,s_dim_br,v_tmp
    .mdiv_u32_rem_vs v_out_iwo_list+6,v_out_iho_list+6,v_tmp+4,s_magic_2,s_shift_m2,s_dslice_w,v_tmp
    v_add_u32 v[v_out_iho_list+6], s[s_dslice_h_left], v[v_out_iho_list+6]
    v_add_u32 v[v_out_iwo_list+6], s[s_dslice_w_left], v[v_out_iwo_list+6]
    v_mul_u32_u24 v[v_tmp+1], s[s_dtile_dy], v[v_out_dslice_iy_itr]
    v_mul_u32_u24 v[v_tmp], s[s_dtile_dx], v[v_out_dslice_ix_itr]
    v_subrev_u32 v[v_out_iho_list+6], v[v_tmp+1], v[v_out_iho_list+6]
    v_subrev_u32 v[v_out_iwo_list+6], v[v_tmp], v[v_out_iwo_list+6]

    v_mul_lo_u32 v[v_tmp+1], s[s_out_stride_n], v[v_out_in]
    v_add_lshl_u32 v[v_tmp+4], v[v_out_ik], v[v_tmp+1], 2
    v_mul_lo_u32 v[v_tmp], s[s_wo], v[v_out_iho_list+6]
    v_add_u32 v[v_tmp], v[v_out_iwo_list+6], v[v_tmp]
    v_mul_lo_u32 v[v_tmp], s[s_out_stride_wo], v[v_tmp]
    v_add_u32 v[v_out_os+6], v[v_tmp+4], v[v_tmp]
    v_cmp_gt_u32 vcc, s[s_n], v[v_out_in]
    v_cndmask_b32 v[v_tmp], 0, 1, vcc
    v_cmp_gt_u32 vcc, s[s_k_dsy_dsx], v[v_out_ike_itr]
    v_cndmask_b32 v[v_tmp+1], 0, 1, vcc
    v_and_b32 v[v_tmp], v[v_tmp+1], v[v_tmp]
    v_lshl_or_b32 v[v_out_flag_n], v[v_tmp], 6, v[v_out_flag_n]
    v_cmp_gt_u32 vcc, s[s_ho], v[v_out_iho_list+6]
    v_cndmask_b32 v[v_out_flag+6], 0, v[v_tmp], vcc
    v_cmp_gt_u32 vcc, s[s_wo], v[v_out_iwo_list+6]
    v_cndmask_b32 v[v_out_flag+6], 0, v[v_out_flag+6], vcc
    s_mov_b32 s1, 224
    v_add_u32 v[v_tmp], s1, v[v_out_inb]
    v_add_u32 v[v_tmp+5], s[s_block_gtc_inb], v[v_tmp]
    .mdiv_u32_rem_vs v_tmp+4,v_out_in,v_tmp+5,s_magic_3,s_shift_m3,s_dim_br,v_tmp
    .mdiv_u32_rem_vs v_out_iwo_list+7,v_out_iho_list+7,v_tmp+4,s_magic_2,s_shift_m2,s_dslice_w,v_tmp
    v_add_u32 v[v_out_iho_list+7], s[s_dslice_h_left], v[v_out_iho_list+7]
    v_add_u32 v[v_out_iwo_list+7], s[s_dslice_w_left], v[v_out_iwo_list+7]
    v_mul_u32_u24 v[v_tmp+1], s[s_dtile_dy], v[v_out_dslice_iy_itr]
    v_mul_u32_u24 v[v_tmp], s[s_dtile_dx], v[v_out_dslice_ix_itr]
    v_subrev_u32 v[v_out_iho_list+7], v[v_tmp+1], v[v_out_iho_list+7]
    v_subrev_u32 v[v_out_iwo_list+7], v[v_tmp], v[v_out_iwo_list+7]

    v_mul_lo_u32 v[v_tmp+1], s[s_out_stride_n], v[v_out_in]
    v_add_lshl_u32 v[v_tmp+4], v[v_out_ik], v[v_tmp+1], 2
    v_mul_lo_u32 v[v_tmp], s[s_wo], v[v_out_iho_list+7]
    v_add_u32 v[v_tmp], v[v_out_iwo_list+7], v[v_tmp]
    v_mul_lo_u32 v[v_tmp], s[s_out_stride_wo], v[v_tmp]
    v_add_u32 v[v_out_os+7], v[v_tmp+4], v[v_tmp]
    v_cmp_gt_u32 vcc, s[s_n], v[v_out_in]
    v_cndmask_b32 v[v_tmp], 0, 1, vcc
    v_cmp_gt_u32 vcc, s[s_k_dsy_dsx], v[v_out_ike_itr]
    v_cndmask_b32 v[v_tmp+1], 0, 1, vcc
    v_and_b32 v[v_tmp], v[v_tmp+1], v[v_tmp]
    v_lshl_or_b32 v[v_out_flag_n], v[v_tmp], 7, v[v_out_flag_n]
    v_cmp_gt_u32 vcc, s[s_ho], v[v_out_iho_list+7]
    v_cndmask_b32 v[v_out_flag+7], 0, v[v_tmp], vcc
    v_cmp_gt_u32 vcc, s[s_wo], v[v_out_iwo_list+7]
    v_cndmask_b32 v[v_out_flag+7], 0, v[v_out_flag+7], vcc
    v_lshl_or_b32 v[v_out_dslice_ix_iy_itr], v[v_out_dslice_ix_itr], 16, v[v_out_dslice_iy_itr]
    s_mov_b32 s[s_p_out+2], 0xffffffff
    s_mov_b32 s[s_p_out+3], 0x27000
    ; load output, nxe:1
    .v_clear_nc v_gld_a, 8
    v_cmpx_le_u32 vcc, 1, v[v_out_flag]
    buffer_load_dword v[v_gld_a], v[v_out_os], s[s_p_out:s_p_out+3], s[s_out_offset] offen offset:0
    s_mov_b64 exec, -1
    v_cmpx_le_u32 vcc, 1, v[v_out_flag+1]
    buffer_load_dword v[v_gld_a+1], v[v_out_os+1], s[s_p_out:s_p_out+3], s[s_out_offset] offen offset:0
    s_mov_b64 exec, -1
    v_cmpx_le_u32 vcc, 1, v[v_out_flag+2]
    buffer_load_dword v[v_gld_a+2], v[v_out_os+2], s[s_p_out:s_p_out+3], s[s_out_offset] offen offset:0
	;; [unrolled: 3-line block ×7, first 2 shown]
    s_mov_b64 exec, -1

    s_mov_b32 s[0], 4
    .v_u32_div_rem_ss s_move_slice_k_dsx, s_tmp+4, 0, s_dslice_x, v_tmp+5, v_tmp, s_tmp
    .v_u32_div_rem_ss s_move_slice_k_dsy, s_move_slice_k_k, s_tmp+4, s_dslice_y, v_tmp+5, v_tmp, s_tmp
    v_mov_b32 v[v_tmp+5], v0
    ; xdlops mapping, get source matrix gemm index, k_pack:1, v_pack:1, k_pack_per_thread:1
    v_and_b32 v[v_gemm_in], 31, v[v_tmp+5]           ; block_n index 
    v_and_b32 v[v_gemm_im], 31, v[v_tmp+5]           ; block_m index 
    v_lshrrev_b32 v[v_tmp+5], 5, v[v_tmp+5]
    v_and_b32 v[v_tmp + 1], 1, v[v_tmp+5]          ; block_m_per_wave index
    v_lshl_or_b32 v[v_gemm_im], v[v_tmp + 1], 5, v[v_gemm_im]
    v_lshrrev_b32 v[v_tmp+5], 1, v[v_tmp+5]
    v_and_b32 v[v_tmp + 3], 1, v[v_tmp+5]  ; waves_per_m index
    v_lshl_or_b32 v[v_gemm_im], v[v_tmp + 3], 6, v[v_gemm_im]

    v_mov_b32 v[v_tmp+5], v0
    ; xdlops mapping, get dst matrix gemm index
    v_and_b32 v[v_tmp+0], 31, v[v_tmp+5]
    v_lshrrev_b32 v[v_tmp+5], 5, v[v_tmp+5]
    v_and_b32 v[v_tmp+1], 1, v[v_tmp+5]
    v_lshrrev_b32 v[v_tmp+5], 1, v[v_tmp+5]
    v_mov_b32 v[v_co_sst], v[v_tmp+0]
    v_lshlrev_b32 v[v_co_sld], 2, v[v_tmp+1]
    v_and_b32 v[v_tmp+1], 1, v[v_tmp+5]
    v_lshl_or_b32 v[v_co_sld], v[v_tmp+1], 6, v[v_co_sld]

    ; LDS store, out: e,k,nb0,nb1: 1x1x8x1, 1x4x1x32, k_pack:1, k_pack_gld_a:1, fp32
    v_lshl_or_b32 v[v_tmp], v[v_out_ike_itr], 8, v[v_out_inb]
    v_lshlrev_b32 v[v_sst_a_os], 2, v[v_tmp]

    v_lshlrev_b32 v[v_sld_a_os], 2, v[v_gemm_im] ; LDS load out
    ; LDS store, wei: e,k,c: 1x1x1x1, 1x4x1x32, k_pack:1, k_pack_gld_b:1, fp32
    v_lshl_or_b32 v[v_tmp], v[v_wei_ike_itr], 5, v[v_wei_ic]
    v_lshlrev_b32 v[v_sst_b_os], 2, v[v_tmp]
    v_add_u32 v[v_sst_b_os], 4096, v[v_sst_b_os]

    v_lshlrev_b32 v[v_sld_b_os], 2, v[v_gemm_in] ; LDS load wei
    v_add_u32 v[v_sld_b_os], 4096, v[v_sld_b_os]
    v_mov_b32 v[v_gemm_in], v[v_co_sst]
    v_mov_b32 v[v_gemm_im], v[v_co_sld]
    ; init_co_lds_offset for xdlops
    v_lshrrev_b32 v[v_tmp], 2, v[v_gemm_im]
    v_and_b32 v[v_tmp],  1, v[v_tmp]   ; thread id of lanegroup_m_per_cluster
    v_lshlrev_b32 v[v_co_sst], 2, v[v_tmp]
    v_lshrrev_b32 v[v_tmp+2], 6, v[v_gemm_im]  ; thread id of waves_per_m
    v_lshl_or_b32 v[v_co_sst], v[v_tmp+2], 5, v[v_co_sst]
    v_lshrrev_b32 v[v_tmp], 2, v[v_co_sst]
    v_lshlrev_b32 v[v_tmp+1], 2, v[v_gemm_in]   ; implicit transpose with m granularity:4 while store
    v_lshl_or_b32 v[v_co_sst], v[v_tmp], 7, v[v_tmp+1]
    v_lshlrev_b32 v[v_co_sst], 2, v[v_co_sst]
    v_lshlrev_b32 v[v_co_sld], 4, v[0]
    ; init_co_sub_m_index xdlops, block_size:128, macro-tile:256x32 sub_m_index:[0, 4, 8, 12]
    ; g_mr:2, g_ms:1, g_mw:2, g_mb:1, g_mt:1 | l_mr:1, l_ms:1, l_mw:1, l_mb:4, l_mt:4 | n_mc:2, n_ml:1, n_mv:2
    ; nd_stride:[4, 2, 1, 4, 2, 1, 2, 1]
    v_lshrrev_b32 v[v_co_sub_m_index], 5, v[0]   ; get tid along m
    v_and_b32 v[v_tmp+0], 1, v[v_co_sub_m_index]                   ; => x_mc
    v_lshrrev_b32 v[v_co_sub_m_index], 1  ,v[v_co_sub_m_index]
    v_and_b32 v[v_tmp+1], 3, v[v_co_sub_m_index]                   ; => x_mb
    v_lshlrev_b32 v[v_co_sub_m_index], 2, v[v_tmp+0]      ; => accumulate x_mc
    v_lshl_or_b32 v[v_co_sub_m_index], v[v_tmp+1], 3, v[v_co_sub_m_index]      ; => accumulate x_mb
    ; init_co_sub_n_index xdlops
    v_and_b32 v[v_co_sub_n_index], 31, v[0]

    v_add_u32 v[v_tmp], s[s_block_gtc_ic], v[v_co_sub_n_index]
    v_cmp_gt_u32 vcc, s[s_c], v[v_tmp]
    v_cndmask_b32 v[v_in_flag_c], 0, 1, vcc
    ; input offset
    s_mul_i32 s[s_tmp], s[s_block_gtc_ig], s[s_c]
    s_mul_hi_u32 s[s_tmp+1], s[s_block_gtc_ig], s[s_c]
    s_add_u32 s[s_p_in], s[s_p_in], s[s_tmp]
    s_addc_u32 s[s_p_in+1], s[s_p_in+1], s[s_tmp+1]

    s_lshl_b32 s[s_tmp+3], s[s_block_gtc_ic], 2
    s_add_u32 s[s_p_in], s[s_p_in], s[s_tmp+3]
    s_addc_u32 s[s_p_in+1], s[s_p_in+1], 0

    s_lshl_b32 s[s_in_stride_wi], s[s_in_stride_wi], 2
    v_add_u32 v[v_in_inb], s[s_block_gtc_inb], v[v_co_sub_m_index]
    s_mul_i32 s[s_tmp], s[s_dslice_h_left], s[s_stride_h]
    s_mul_i32 s[s_tmp+1], s[s_dtile_iy], s[s_dilation_h]
    s_add_i32 s[s_tmp+2], s[s_tmp], s[s_tmp+1]
    s_sub_i32 s[s_in_hi_sshift], s[s_tmp+2], s[s_pad_h]
    s_mul_i32 s[s_tmp], s[s_dslice_w_left], s[s_stride_w]
    s_mul_i32 s[s_tmp+1], s[s_dtile_ix], s[s_dilation_w]
    s_add_i32 s[s_tmp+2], s[s_tmp], s[s_tmp+1]
    s_sub_i32 s[s_in_wi_sshift], s[s_tmp+2], s[s_pad_w]
    v_lshlrev_b32 v[v_co_sub_n_index], 2, v[v_co_sub_n_index]
    s_lshl_b32 s[s_in_stride_n], s[s_in_stride_n], 2
    ; move slice stride
    v_bfe_u32 v[v_wei_flag], v[v_wei_tmp_pack], 0, 1

    s_mov_b32 s[s_p_in+2], 0xffffffff
    s_mov_b32 s[s_p_in+3], 0x27000
    s_lshl_b32 s[s_wei_stride_k], s[s_wei_stride_k], 2
    s_lshl_b32 s[s_tmp+4], s[s_c], 2
    s_mul_i32 s[s_tmp+5], s[s_x], s[s_tmp+4]
    s_mul_i32 s[s_tmp+3], s[s_wo], s[s_out_stride_wo]
    s_mul_i32 s[s_diff_out_iho_ovf_dsy], s[s_dslice_y], s[s_dtile_dy]
    s_mul_i32 s[s_diff_out_iho_acc_dsy], s[s_move_slice_k_dsy], s[s_dtile_dy]
    s_mul_i32 s[s_diff_out_iho_acc_dsy], -1, s[s_diff_out_iho_acc_dsy]
    s_mul_i32 s[s_diff_out_iwo_ovf_dsx], s[s_dslice_x], s[s_dtile_dx]
    s_mul_i32 s[s_diff_out_iwo_acc_dsx], s[s_move_slice_k_dsx], s[s_dtile_dx]
    s_mul_i32 s[s_diff_out_iwo_acc_dsx], -1, s[s_diff_out_iwo_acc_dsx]
    s_mul_i32 s[s_tmp], s[s_dtile_y], s[s_tmp+5]
    s_mul_i32 s[s_tmp+2], s[s_dtile_x], s[s_tmp+4]
    s_mul_i32 s[s_tmp+1], s[s_tmp], s[s_dslice_y]
    s_sub_u32 s[s_diff_wei_os_ovf_dsy_acc_k], s[s_wei_stride_k], s[s_tmp+1]
    s_mul_i32 s[s_tmp+1], s[s_dslice_x], s[s_tmp+2]
    s_sub_u32 s[s_diff_wei_os_ovf_dsx_acc_dsy], s[s_tmp], s[s_tmp+1]
    s_mul_i32 s[s_tmp], s[s_move_slice_k_dsy], s[s_tmp]
    s_mul_i32 s[s_tmp+1], s[s_move_slice_k_dsx], s[s_tmp+2]
    s_mul_i32 s[s_tmp+2], s[s_move_slice_k_k], s[s_wei_stride_k]
    s_add_u32 s[s_tmp], s[s_tmp], s[s_tmp+1]
    s_add_u32 s[s_diff_wei_os_acc_k_dsy_dsx], s[s_tmp], s[s_tmp+2]
    s_mul_i32 s[s_tmp], s[s_diff_out_iho_ovf_dsy], s[s_tmp+3]
    s_add_u32 s[s_diff_out_os_ovf_dsy_acc_k], s[s_tmp], 4
    s_mul_i32 s[s_tmp], s[s_dtile_dy], s[s_tmp+3]
    s_mul_i32 s[s_tmp+1], s[s_diff_out_iwo_ovf_dsx], s[s_out_stride_wo]
    s_sub_u32 s[s_diff_out_os_ovf_dsx_acc_dsy], s[s_tmp+1], s[s_tmp]
    s_mul_i32 s[s_tmp], s[s_diff_out_iho_acc_dsy], s[s_tmp+3]
    s_mul_i32 s[s_tmp+1], s[s_diff_out_iwo_acc_dsx], s[s_out_stride_wo]
    s_lshl_b32 s[s_tmp+2], s[s_move_slice_k_k], 2
    s_add_u32 s[s_tmp], s[s_tmp], s[s_tmp+1]
    s_add_u32 s[s_diff_out_os_acc_k_dsy_dsx], s[s_tmp], s[s_tmp+2]
    s_lshl_b32 s[s_tmp], s[s_move_slice_k_dsx], 16
    s_or_b32 s[s_move_slice_k_dsx_dsy], s[s_tmp], s[s_move_slice_k_dsy]
    s_lshl_b32 s[s_dslice_x_hi16], s[s_dslice_x], 16
    s_sub_u32 s[s_diff_ix_iy_acc_ix], 1, s[s_dslice_x_hi16]
    ; start MFMA loop, 64x32 wave tile with 2x1 repeat, 1x1 step, k_pack:1
    s_waitcnt vmcnt(8)
    ds_write_b32 v[v_sst_b_os], v[v_gld_b] 

    s_waitcnt vmcnt(0)
    ds_write2_b32 v[v_sst_a_os], v[v_gld_a+0], v[v_gld_a+0+1], offset0:0, offset1:32
    ds_write2_b32 v[v_sst_a_os], v[v_gld_a+2], v[v_gld_a+2+1], offset0:64, offset1:96
	;; [unrolled: 1-line block ×4, first 2 shown]

    .v_clear_nc a_c, 64
    ; make sure acc WAR harzard, at least 1 nop for src_c
    s_sub_i32 s[s_kitr], s[s_knum], 4
    s_cmp_gt_i32 s[s_kitr], 0
    s_cbranch_scc0 L_igemm_bwd_gtcx35_nhwc_fp32_bx0_ex1_bt256x32x4_wt64x32x1_ws1x1_wr2x1_ta1x1x8x1_1x4x1x32_tb1x1x1x1_1x4x1x32_mh_me_mfma_end

    v_mov_b32 v[v_out_iwo_diff], s[s_diff_out_iwo_acc_dsx]
    v_mov_b32 v[v_out_iho_diff], s[s_diff_out_iho_acc_dsy]
    v_mov_b32 v[v_out_os_diff], s[s_diff_out_os_acc_k_dsy_dsx]
    v_mov_b32 v[v_wei_os_diff], s[s_diff_wei_os_acc_k_dsy_dsx]
    v_add_u32 v[v_wei_ike_itr], 4, v[v_wei_ike_itr]
    v_add_u32 v[v_out_ike_itr], 4, v[v_out_ike_itr]
    v_add_u32 v[v_out_dslice_ix_iy_itr], s[s_move_slice_k_dsx_dsy], v[v_out_dslice_ix_iy_itr]
    v_cmpx_le_u32 vcc, s[s_dslice_x_hi16], v[v_out_dslice_ix_iy_itr]
    v_add_u32 v[v_out_dslice_ix_iy_itr], s[s_diff_ix_iy_acc_ix], v[v_out_dslice_ix_iy_itr]
    v_add_u32 v[v_out_iwo_diff], s[s_diff_out_iwo_ovf_dsx], v[v_out_iwo_diff]
    v_subrev_u32 v[v_out_iho_diff], s[s_dtile_dy], v[v_out_iho_diff]
    v_add_u32 v[v_out_os_diff], s[s_diff_out_os_ovf_dsx_acc_dsy], v[v_out_os_diff]
    s_mov_b64 exec, -1
    v_cmpx_le_u16 vcc, s[s_dslice_y], v[v_out_dslice_ix_iy_itr]
    v_subrev_u32 v[v_out_dslice_ix_iy_itr], s[s_dslice_y], v[v_out_dslice_ix_iy_itr]
    v_add_u32 v[v_out_iho_diff], s[s_diff_out_iho_ovf_dsy], v[v_out_iho_diff]
    v_add_u32 v[v_out_os_diff], s[s_diff_out_os_ovf_dsy_acc_k], v[v_out_os_diff]
    s_mov_b64 exec, -1
    v_add_u32 v[v_wei_dslice_ix_iy_itr], s[s_move_slice_k_dsx_dsy], v[v_wei_dslice_ix_iy_itr]
    v_cmpx_le_u32 vcc, s[s_dslice_x_hi16], v[v_wei_dslice_ix_iy_itr]
    v_add_u32 v[v_wei_dslice_ix_iy_itr], s[s_diff_ix_iy_acc_ix], v[v_wei_dslice_ix_iy_itr]
    v_add_u32 v[v_wei_os_diff], s[s_diff_wei_os_ovf_dsx_acc_dsy], v[v_wei_os_diff]
    s_mov_b64 exec, -1
    v_cmpx_le_u16 vcc, s[s_dslice_y], v[v_wei_dslice_ix_iy_itr]
    v_subrev_u32 v[v_wei_dslice_ix_iy_itr], s[s_dslice_y], v[v_wei_dslice_ix_iy_itr]
    v_add_u32 v[v_wei_os_diff], s[s_diff_wei_os_ovf_dsy_acc_k], v[v_wei_os_diff]
    s_mov_b64 exec, -1
    v_add_u32 v[v_out_iwo_list], v[v_out_iwo_diff], v[v_out_iwo_list]
    v_add_u32 v[v_out_iwo_list+1], v[v_out_iwo_diff], v[v_out_iwo_list+1]
    v_add_u32 v[v_out_iwo_list+2], v[v_out_iwo_diff], v[v_out_iwo_list+2]
	;; [unrolled: 1-line block ×7, first 2 shown]
    v_add_u32 v[v_out_iho_list], v[v_out_iho_diff], v[v_out_iho_list]
    v_add_u32 v[v_out_iho_list+1], v[v_out_iho_diff], v[v_out_iho_list+1]
    v_add_u32 v[v_out_iho_list+2], v[v_out_iho_diff], v[v_out_iho_list+2]
	;; [unrolled: 1-line block ×7, first 2 shown]
    v_add_u32 v[v_wei_os], v[v_wei_os_diff], v[v_wei_os]
    v_cmp_gt_u32 vcc, s[s_k_dsy_dsx], v[v_wei_ike_itr]
    v_cndmask_b32 v[v_out_iwo_diff], 0, 1, vcc
    v_and_b32 v[v_wei_flag], v[v_out_iwo_diff], v[v_wei_flag]
    v_cmp_gt_u32 vcc, s[s_k_dsy_dsx], v[v_out_ike_itr]
    v_cndmask_b32 v[v_out_iwo_diff], 0, 1, vcc
    v_add_u32 v[v_out_os], v[v_out_os_diff], v[v_out_os]
    v_bfe_u32 v[v_out_iho_diff], v[v_out_flag_n], 0, 1   ; extract flag_n
    v_and_b32 v[v_out_iho_diff], v[v_out_iwo_diff], v[v_out_iho_diff]
    v_cmp_gt_u32 vcc, s[s_ho], v[v_out_iho_list]
    v_cndmask_b32 v[v_out_flag], 0, v[v_out_iho_diff], vcc
    v_cmp_gt_u32 vcc, s[s_wo], v[v_out_iwo_list]
    v_cndmask_b32 v[v_out_flag], 0, v[v_out_flag], vcc
    v_add_u32 v[v_out_os+1], v[v_out_os_diff], v[v_out_os+1]
    v_bfe_u32 v[v_out_iho_diff], v[v_out_flag_n], 1, 1   ; extract flag_n
    v_and_b32 v[v_out_iho_diff], v[v_out_iwo_diff], v[v_out_iho_diff]
    v_cmp_gt_u32 vcc, s[s_ho], v[v_out_iho_list+1]
    v_cndmask_b32 v[v_out_flag+1], 0, v[v_out_iho_diff], vcc
    v_cmp_gt_u32 vcc, s[s_wo], v[v_out_iwo_list+1]
    v_cndmask_b32 v[v_out_flag+1], 0, v[v_out_flag+1], vcc
    v_add_u32 v[v_out_os+2], v[v_out_os_diff], v[v_out_os+2]
    v_bfe_u32 v[v_out_iho_diff], v[v_out_flag_n], 2, 1   ; extract flag_n
    v_and_b32 v[v_out_iho_diff], v[v_out_iwo_diff], v[v_out_iho_diff]
    v_cmp_gt_u32 vcc, s[s_ho], v[v_out_iho_list+2]
    v_cndmask_b32 v[v_out_flag+2], 0, v[v_out_iho_diff], vcc
    v_cmp_gt_u32 vcc, s[s_wo], v[v_out_iwo_list+2]
    v_cndmask_b32 v[v_out_flag+2], 0, v[v_out_flag+2], vcc
	;; [unrolled: 7-line block ×7, first 2 shown]
    
    s_waitcnt lgkmcnt(0)
    s_barrier
L_igemm_bwd_gtcx35_nhwc_fp32_bx0_ex1_bt256x32x4_wt64x32x1_ws1x1_wr2x1_ta1x1x8x1_1x4x1x32_tb1x1x1x1_1x4x1x32_mh_me_mfma_body:
    ; do fma accumulate with unroll 4
    ds_read_b32 v[v_b], v[v_sld_b_os] offset:0
    ds_read_b32 v[v_a], v[v_sld_a_os] offset:0
    ds_read_b32 v[v_a+1], v[v_sld_a_os] offset:512
    s_waitcnt lgkmcnt(1)
    v_mfma_f32_32x32x1f32 v[a_c+0:a_c+31], v[v_a], v[v_b], v[a_c+0:a_c+31]     ; repeat:0x0, step:0x0, num_a_c:32
    v_cmpx_le_u32 vcc, 1, v[v_wei_flag]
    buffer_load_dword v[v_gld_b], v[v_wei_os], s[s_p_wei:s_p_wei+3], 0 offen offset:0
    s_mov_b64 exec, -1
    .v_clear_nc v_gld_a, 8
    v_cmpx_le_u32 vcc, 1, v[v_out_flag]
    buffer_load_dword v[v_gld_a], v[v_out_os], s[s_p_out:s_p_out+3], s[s_out_offset] offen offset:0
    s_mov_b64 exec, -1
    v_cmpx_le_u32 vcc, 1, v[v_out_flag+1]
    buffer_load_dword v[v_gld_a+1], v[v_out_os+1], s[s_p_out:s_p_out+3], s[s_out_offset] offen offset:0
    s_mov_b64 exec, -1
    v_cmpx_le_u32 vcc, 1, v[v_out_flag+2]
    buffer_load_dword v[v_gld_a+2], v[v_out_os+2], s[s_p_out:s_p_out+3], s[s_out_offset] offen offset:0
    s_mov_b64 exec, -1
    ds_read_b32 v[v_b+1], v[v_sld_b_os] offset:128 ; load i_k:1 into local buffer 1, repeat 0
    ds_read_b32 v[v_a+2], v[v_sld_a_os] offset:1024 ; load i_k:1 into local buffer 1, repeat 0
    ds_read_b32 v[v_a+3], v[v_sld_a_os] offset:1536 ; load i_k:1 into local buffer 1, repeat 1
    s_waitcnt lgkmcnt(3)
    v_mfma_f32_32x32x1f32 v[a_c+32:a_c+63], v[v_a+1], v[v_b], v[a_c+32:a_c+63]     ; repeat:1x0, step:0x0, num_a_c:32
    v_cmpx_le_u32 vcc, 1, v[v_out_flag+3]
    buffer_load_dword v[v_gld_a+3], v[v_out_os+3], s[s_p_out:s_p_out+3], s[s_out_offset] offen offset:0
    s_mov_b64 exec, -1
    v_cmpx_le_u32 vcc, 1, v[v_out_flag+4]
    buffer_load_dword v[v_gld_a+4], v[v_out_os+4], s[s_p_out:s_p_out+3], s[s_out_offset] offen offset:0
    s_mov_b64 exec, -1
	;; [unrolled: 3-line block ×5, first 2 shown]
    ds_read_b32 v[v_b], v[v_sld_b_os] offset:256 ; load i_k:2 into local buffer 0, repeat 0
    ds_read_b32 v[v_a], v[v_sld_a_os] offset:2048 ; load i_k:2 into local buffer 0, repeat 0
    s_waitcnt lgkmcnt(3)
    v_mfma_f32_32x32x1f32 v[a_c+0:a_c+31], v[v_a+2], v[v_b+1], v[a_c+0:a_c+31]     ; repeat:0x0, step:0x0, num_a_c:32
    v_mov_b32 v[v_out_iwo_diff], s[s_diff_out_iwo_acc_dsx]
    v_mov_b32 v[v_out_iho_diff], s[s_diff_out_iho_acc_dsy]
    v_mov_b32 v[v_out_os_diff], s[s_diff_out_os_acc_k_dsy_dsx]
    v_mov_b32 v[v_wei_os_diff], s[s_diff_wei_os_acc_k_dsy_dsx]
    v_add_u32 v[v_wei_ike_itr], 4, v[v_wei_ike_itr]
    v_add_u32 v[v_out_ike_itr], 4, v[v_out_ike_itr]
    v_add_u32 v[v_out_dslice_ix_iy_itr], s[s_move_slice_k_dsx_dsy], v[v_out_dslice_ix_iy_itr]
    v_cmpx_le_u32 vcc, s[s_dslice_x_hi16], v[v_out_dslice_ix_iy_itr]
    v_add_u32 v[v_out_dslice_ix_iy_itr], s[s_diff_ix_iy_acc_ix], v[v_out_dslice_ix_iy_itr]
    v_add_u32 v[v_out_iwo_diff], s[s_diff_out_iwo_ovf_dsx], v[v_out_iwo_diff]
    v_subrev_u32 v[v_out_iho_diff], s[s_dtile_dy], v[v_out_iho_diff]
    v_add_u32 v[v_out_os_diff], s[s_diff_out_os_ovf_dsx_acc_dsy], v[v_out_os_diff]
    s_mov_b64 exec, -1
    v_cmpx_le_u16 vcc, s[s_dslice_y], v[v_out_dslice_ix_iy_itr]
    v_subrev_u32 v[v_out_dslice_ix_iy_itr], s[s_dslice_y], v[v_out_dslice_ix_iy_itr]
    v_add_u32 v[v_out_iho_diff], s[s_diff_out_iho_ovf_dsy], v[v_out_iho_diff]
    v_add_u32 v[v_out_os_diff], s[s_diff_out_os_ovf_dsy_acc_k], v[v_out_os_diff]
    s_mov_b64 exec, -1
    v_add_u32 v[v_wei_dslice_ix_iy_itr], s[s_move_slice_k_dsx_dsy], v[v_wei_dslice_ix_iy_itr]
    v_cmpx_le_u32 vcc, s[s_dslice_x_hi16], v[v_wei_dslice_ix_iy_itr]
    v_add_u32 v[v_wei_dslice_ix_iy_itr], s[s_diff_ix_iy_acc_ix], v[v_wei_dslice_ix_iy_itr]
    v_add_u32 v[v_wei_os_diff], s[s_diff_wei_os_ovf_dsx_acc_dsy], v[v_wei_os_diff]
    s_mov_b64 exec, -1
    v_cmpx_le_u16 vcc, s[s_dslice_y], v[v_wei_dslice_ix_iy_itr]
    v_subrev_u32 v[v_wei_dslice_ix_iy_itr], s[s_dslice_y], v[v_wei_dslice_ix_iy_itr]
    v_add_u32 v[v_wei_os_diff], s[s_diff_wei_os_ovf_dsy_acc_k], v[v_wei_os_diff]
    s_mov_b64 exec, -1
    v_add_u32 v[v_out_iwo_list], v[v_out_iwo_diff], v[v_out_iwo_list]
    v_add_u32 v[v_out_iwo_list+1], v[v_out_iwo_diff], v[v_out_iwo_list+1]
    v_add_u32 v[v_out_iwo_list+2], v[v_out_iwo_diff], v[v_out_iwo_list+2]
    v_add_u32 v[v_out_iwo_list+3], v[v_out_iwo_diff], v[v_out_iwo_list+3]
    v_add_u32 v[v_out_iwo_list+4], v[v_out_iwo_diff], v[v_out_iwo_list+4]
    v_add_u32 v[v_out_iwo_list+5], v[v_out_iwo_diff], v[v_out_iwo_list+5]
    v_add_u32 v[v_out_iwo_list+6], v[v_out_iwo_diff], v[v_out_iwo_list+6]
    v_add_u32 v[v_out_iwo_list+7], v[v_out_iwo_diff], v[v_out_iwo_list+7]
    v_add_u32 v[v_out_iho_list], v[v_out_iho_diff], v[v_out_iho_list]
    v_add_u32 v[v_out_iho_list+1], v[v_out_iho_diff], v[v_out_iho_list+1]
    v_add_u32 v[v_out_iho_list+2], v[v_out_iho_diff], v[v_out_iho_list+2]
	;; [unrolled: 1-line block ×7, first 2 shown]
    v_add_u32 v[v_wei_os], v[v_wei_os_diff], v[v_wei_os]
    v_cmp_gt_u32 vcc, s[s_k_dsy_dsx], v[v_wei_ike_itr]
    ds_read_b32 v[v_a+1], v[v_sld_a_os] offset:2560 ; load i_k:2 into local buffer 0, repeat 1
    ds_read_b32 v[v_a+2], v[v_sld_a_os] offset:3072 ; load i_k:3 into local buffer 1, repeat 0
    s_waitcnt lgkmcnt(4)
    v_mfma_f32_32x32x1f32 v[a_c+32:a_c+63], v[v_a+3], v[v_b+1], v[a_c+32:a_c+63]     ; repeat:1x0, step:0x0, num_a_c:32
    v_cndmask_b32 v[v_out_iwo_diff], 0, 1, vcc
    v_and_b32 v[v_wei_flag], v[v_out_iwo_diff], v[v_wei_flag]
    v_cmp_gt_u32 vcc, s[s_k_dsy_dsx], v[v_out_ike_itr]
    v_cndmask_b32 v[v_out_iwo_diff], 0, 1, vcc
    v_add_u32 v[v_out_os], v[v_out_os_diff], v[v_out_os]
    v_bfe_u32 v[v_out_iho_diff], v[v_out_flag_n], 0, 1   ; extract flag_n
    v_and_b32 v[v_out_iho_diff], v[v_out_iwo_diff], v[v_out_iho_diff]
    v_cmp_gt_u32 vcc, s[s_ho], v[v_out_iho_list]
    v_cndmask_b32 v[v_out_flag], 0, v[v_out_iho_diff], vcc
    v_cmp_gt_u32 vcc, s[s_wo], v[v_out_iwo_list]
    v_cndmask_b32 v[v_out_flag], 0, v[v_out_flag], vcc
    v_add_u32 v[v_out_os+1], v[v_out_os_diff], v[v_out_os+1]
    v_bfe_u32 v[v_out_iho_diff], v[v_out_flag_n], 1, 1   ; extract flag_n
    v_and_b32 v[v_out_iho_diff], v[v_out_iwo_diff], v[v_out_iho_diff]
    v_cmp_gt_u32 vcc, s[s_ho], v[v_out_iho_list+1]
    v_cndmask_b32 v[v_out_flag+1], 0, v[v_out_iho_diff], vcc
    v_cmp_gt_u32 vcc, s[s_wo], v[v_out_iwo_list+1]
    v_cndmask_b32 v[v_out_flag+1], 0, v[v_out_flag+1], vcc
    v_add_u32 v[v_out_os+2], v[v_out_os_diff], v[v_out_os+2]
    v_bfe_u32 v[v_out_iho_diff], v[v_out_flag_n], 2, 1   ; extract flag_n
    v_and_b32 v[v_out_iho_diff], v[v_out_iwo_diff], v[v_out_iho_diff]
    v_cmp_gt_u32 vcc, s[s_ho], v[v_out_iho_list+2]
    v_cndmask_b32 v[v_out_flag+2], 0, v[v_out_iho_diff], vcc
    v_cmp_gt_u32 vcc, s[s_wo], v[v_out_iwo_list+2]
    v_cndmask_b32 v[v_out_flag+2], 0, v[v_out_flag+2], vcc
    v_add_u32 v[v_out_os+3], v[v_out_os_diff], v[v_out_os+3]
    v_bfe_u32 v[v_out_iho_diff], v[v_out_flag_n], 3, 1   ; extract flag_n
    v_and_b32 v[v_out_iho_diff], v[v_out_iwo_diff], v[v_out_iho_diff]
    v_cmp_gt_u32 vcc, s[s_ho], v[v_out_iho_list+3]
    v_cndmask_b32 v[v_out_flag+3], 0, v[v_out_iho_diff], vcc
    ds_read_b32 v[v_b+1], v[v_sld_b_os] offset:384 ; load i_k:3 into local buffer 1, repeat 0
    ds_read_b32 v[v_a+3], v[v_sld_a_os] offset:3584 ; load i_k:3 into local buffer 1, repeat 1
    v_cmp_gt_u32 vcc, s[s_wo], v[v_out_iwo_list+3]
    v_cndmask_b32 v[v_out_flag+3], 0, v[v_out_flag+3], vcc
    v_add_u32 v[v_out_os+4], v[v_out_os_diff], v[v_out_os+4]
    v_bfe_u32 v[v_out_iho_diff], v[v_out_flag_n], 4, 1   ; extract flag_n
    v_and_b32 v[v_out_iho_diff], v[v_out_iwo_diff], v[v_out_iho_diff]
    v_cmp_gt_u32 vcc, s[s_ho], v[v_out_iho_list+4]
    v_cndmask_b32 v[v_out_flag+4], 0, v[v_out_iho_diff], vcc
    v_cmp_gt_u32 vcc, s[s_wo], v[v_out_iwo_list+4]
    v_cndmask_b32 v[v_out_flag+4], 0, v[v_out_flag+4], vcc
    v_add_u32 v[v_out_os+5], v[v_out_os_diff], v[v_out_os+5]
    v_bfe_u32 v[v_out_iho_diff], v[v_out_flag_n], 5, 1   ; extract flag_n
    v_and_b32 v[v_out_iho_diff], v[v_out_iwo_diff], v[v_out_iho_diff]
    v_cmp_gt_u32 vcc, s[s_ho], v[v_out_iho_list+5]
    v_cndmask_b32 v[v_out_flag+5], 0, v[v_out_iho_diff], vcc
    v_cmp_gt_u32 vcc, s[s_wo], v[v_out_iwo_list+5]
    v_cndmask_b32 v[v_out_flag+5], 0, v[v_out_flag+5], vcc
    v_add_u32 v[v_out_os+6], v[v_out_os_diff], v[v_out_os+6]
    v_bfe_u32 v[v_out_iho_diff], v[v_out_flag_n], 6, 1   ; extract flag_n
    v_and_b32 v[v_out_iho_diff], v[v_out_iwo_diff], v[v_out_iho_diff]
    v_cmp_gt_u32 vcc, s[s_ho], v[v_out_iho_list+6]
    v_cndmask_b32 v[v_out_flag+6], 0, v[v_out_iho_diff], vcc
    v_cmp_gt_u32 vcc, s[s_wo], v[v_out_iwo_list+6]
    v_cndmask_b32 v[v_out_flag+6], 0, v[v_out_flag+6], vcc
    v_add_u32 v[v_out_os+7], v[v_out_os_diff], v[v_out_os+7]
    v_bfe_u32 v[v_out_iho_diff], v[v_out_flag_n], 7, 1   ; extract flag_n
    v_and_b32 v[v_out_iho_diff], v[v_out_iwo_diff], v[v_out_iho_diff]
    v_cmp_gt_u32 vcc, s[s_ho], v[v_out_iho_list+7]
    v_cndmask_b32 v[v_out_flag+7], 0, v[v_out_iho_diff], vcc
    v_cmp_gt_u32 vcc, s[s_wo], v[v_out_iwo_list+7]
    v_cndmask_b32 v[v_out_flag+7], 0, v[v_out_flag+7], vcc
    s_waitcnt lgkmcnt(0)
    s_barrier
    s_waitcnt vmcnt(8)
    ds_write_b32 v[v_sst_b_os], v[v_gld_b]
    s_waitcnt vmcnt(0)
    ds_write2_b32 v[v_sst_a_os], v[v_gld_a+0], v[v_gld_a+0+1], offset0:0, offset1:32
    v_mfma_f32_32x32x1f32 v[a_c+0:a_c+31], v[v_a], v[v_b], v[a_c+0:a_c+31]     ; repeat:0x0, step:0x0, num_a_c:32
    ds_write2_b32 v[v_sst_a_os], v[v_gld_a+2], v[v_gld_a+2+1], offset0:64, offset1:96
    ds_write2_b32 v[v_sst_a_os], v[v_gld_a+4], v[v_gld_a+4+1], offset0:128, offset1:160
    s_barrier
    v_mfma_f32_32x32x1f32 v[a_c+32:a_c+63], v[v_a+1], v[v_b], v[a_c+32:a_c+63]     ; repeat:1x0, step:0x0, num_a_c:32
    ds_write2_b32 v[v_sst_a_os], v[v_gld_a+6], v[v_gld_a+6+1], offset0:192, offset1:224
    v_mfma_f32_32x32x1f32 v[a_c+0:a_c+31], v[v_a+2], v[v_b+1], v[a_c+0:a_c+31]     ; repeat:0x0, step:0x0, num_a_c:32
    s_sub_i32 s[s_kitr], s[s_kitr], 4
    s_cmp_gt_i32 s[s_kitr], 0
    s_cbranch_scc0 L_igemm_bwd_gtcx35_nhwc_fp32_bx0_ex1_bt256x32x4_wt64x32x1_ws1x1_wr2x1_ta1x1x8x1_1x4x1x32_tb1x1x1x1_1x4x1x32_mh_me_mfma_finishing
    v_mfma_f32_32x32x1f32 v[a_c+32:a_c+63], v[v_a+3], v[v_b+1], v[a_c+32:a_c+63]     ; repeat:1x0, step:0x0, num_a_c:32
    s_waitcnt lgkmcnt(0)
    s_barrier
    s_branch L_igemm_bwd_gtcx35_nhwc_fp32_bx0_ex1_bt256x32x4_wt64x32x1_ws1x1_wr2x1_ta1x1x8x1_1x4x1x32_tb1x1x1x1_1x4x1x32_mh_me_mfma_body
L_igemm_bwd_gtcx35_nhwc_fp32_bx0_ex1_bt256x32x4_wt64x32x1_ws1x1_wr2x1_ta1x1x8x1_1x4x1x32_tb1x1x1x1_1x4x1x32_mh_me_mfma_finishing:
    v_mfma_f32_32x32x1f32 v[a_c+32:a_c+63], v[v_a+3], v[v_b+1], v[a_c+32:a_c+63]     ; repeat:1x0, step:0x0, num_a_c:32

L_igemm_bwd_gtcx35_nhwc_fp32_bx0_ex1_bt256x32x4_wt64x32x1_ws1x1_wr2x1_ta1x1x8x1_1x4x1x32_tb1x1x1x1_1x4x1x32_mh_me_mfma_end:
    s_waitcnt lgkmcnt(0)
    s_barrier
    ds_read_b32 v[v_b], v[v_sld_b_os] offset:0
    ds_read_b32 v[v_a], v[v_sld_a_os] offset:0
    ds_read_b32 v[v_a+1], v[v_sld_a_os] offset:512
    ; k iteration : 0
    s_waitcnt lgkmcnt(1)
    v_mfma_f32_32x32x1f32 v[a_c+0:a_c+31], v[v_a], v[v_b], v[a_c+0:a_c+31]     ; repeat:0x0, step:0x0, num_a_c:32
    ds_read_b32 v[v_b+1], v[v_sld_b_os] offset:128 ; load i_k:1 into local buffer 1, repeat 0
    ds_read_b32 v[v_a+2], v[v_sld_a_os] offset:1024 ; load i_k:1 into local buffer 1, repeat 0
    ds_read_b32 v[v_a+3], v[v_sld_a_os] offset:1536 ; load i_k:1 into local buffer 1, repeat 1

    s_waitcnt lgkmcnt(3)
    v_mfma_f32_32x32x1f32 v[a_c+32:a_c+63], v[v_a+1], v[v_b], v[a_c+32:a_c+63]     ; repeat:1x0, step:0x0, num_a_c:32
    ds_read_b32 v[v_b], v[v_sld_b_os] offset:256 ; load i_k:2 into local buffer 0, repeat 0
    ds_read_b32 v[v_a], v[v_sld_a_os] offset:2048 ; load i_k:2 into local buffer 0, repeat 0

    ; k iteration : 1
    s_waitcnt lgkmcnt(3)
    v_mfma_f32_32x32x1f32 v[a_c+0:a_c+31], v[v_a+2], v[v_b+1], v[a_c+0:a_c+31]     ; repeat:0x0, step:0x0, num_a_c:32
    ds_read_b32 v[v_a+1], v[v_sld_a_os] offset:2560 ; load i_k:2 into local buffer 0, repeat 1
    ds_read_b32 v[v_a+2], v[v_sld_a_os] offset:3072 ; load i_k:3 into local buffer 1, repeat 0

    s_waitcnt lgkmcnt(4)
    v_mfma_f32_32x32x1f32 v[a_c+32:a_c+63], v[v_a+3], v[v_b+1], v[a_c+32:a_c+63]     ; repeat:1x0, step:0x0, num_a_c:32
    ds_read_b32 v[v_b+1], v[v_sld_b_os] offset:384 ; load i_k:3 into local buffer 1, repeat 0
    ds_read_b32 v[v_a+3], v[v_sld_a_os] offset:3584 ; load i_k:3 into local buffer 1, repeat 1

    ; k iteration : 2
    s_waitcnt lgkmcnt(4)
    v_mfma_f32_32x32x1f32 v[a_c+0:a_c+31], v[v_a], v[v_b], v[a_c+0:a_c+31]     ; repeat:0x0, step:0x0, num_a_c:32

    s_waitcnt lgkmcnt(3)
    v_mfma_f32_32x32x1f32 v[a_c+32:a_c+63], v[v_a+1], v[v_b], v[a_c+32:a_c+63]     ; repeat:1x0, step:0x0, num_a_c:32

    ; k iteration : 3
    s_waitcnt lgkmcnt(1)
    v_mfma_f32_32x32x1f32 v[a_c+0:a_c+31], v[v_a+2], v[v_b+1], v[a_c+0:a_c+31]     ; repeat:0x0, step:0x0, num_a_c:32

    s_waitcnt lgkmcnt(0)
    v_mfma_f32_32x32x1f32 v[a_c+32:a_c+63], v[v_a+3], v[v_b+1], v[a_c+32:a_c+63]     ; repeat:1x0, step:0x0, num_a_c:32

    s_nop 15
    s_nop 2
    v_mov_b32 v[v_in_hi_sshift], s[s_in_hi_sshift]
    s_mov_b32 s[s_tmp], 0
    v_mov_b32 v[v_in_wi_sshift], s[s_in_wi_sshift]
    ; coalescing store, mapping:mt_m:256, mt_n:32, wt_m:64, wt_n:32, ws:2, r_m:2, r_n:1, s_m:1, s_n:1 | 32x32x1, lanegroup_m_tcbw:4x2x4x2, lanegroup_n_tcbw:1x32x1x1
    ; coalescing_groups:4, num_dword_per_group:16
    ; init_co_sub_m_index xdlops, block_size:128, macro-tile:256x32 sub_m_index:[0, 4, 8, 12]
    ; g_mr:2, g_ms:1, g_mw:2, g_mb:1, g_mt:1 | l_mr:1, l_ms:1, l_mw:1, l_mb:4, l_mt:4 | n_mc:2, n_ml:1, n_mv:2
    ; nd_stride:[2, 1, 4, 2, 1, 2, 1]
    ; start group 0, i_g_mr:0, i_g_ms:0, i_g_mw:0, i_g_mb:0, i_g_mt:0, m index start from 0
    s_barrier
    ds_write_b128 v[v_co_sst], v[a_c:a_c+3]    ; idword:0(0,0),  0x0 | /4, i_mr:0, i_ms:0, i_mw:0, i_mb:0  x  i_nr:0, i_ns:0, i_nw:0
    ds_write_b128 v[v_co_sst], v[a_c+4:a_c+4+3] offset:1024   ; idword:64(2,0),  2x0 | /4, i_mr:0, i_ms:0, i_mw:0, i_mb:1  x  i_nr:0, i_ns:0, i_nw:0
    ds_write_b128 v[v_co_sst], v[a_c+8:a_c+8+3] offset:2048   ; idword:128(4,0),  4x0 | /4, i_mr:0, i_ms:0, i_mw:0, i_mb:2  x  i_nr:0, i_ns:0, i_nw:0
    ds_write_b128 v[v_co_sst], v[a_c+12:a_c+12+3] offset:3072   ; idword:192(6,0),  6x0 | /4, i_mr:0, i_ms:0, i_mw:0, i_mb:3  x  i_nr:0, i_ns:0, i_nw:0
    v_add_u32 v[v_tmp], 0, v[v_in_inb]
    .mdiv_u32_rem_vs v_tmp+2,v_in_in,v_tmp,s_magic_3,s_shift_m3,s_dim_br,v_tmp+1
    .mdiv_u32_rem_vs v_in_iwi,v_in_ihi,v_tmp+2,s_magic_2,s_shift_m2,s_dslice_w,v_tmp+1
    v_mad_u32_u24 v[v_in_ihi], v[v_in_ihi], s[s_stride_h], v[v_in_hi_sshift]
    v_mad_u32_u24 v[v_in_iwi], v[v_in_iwi], s[s_stride_w], v[v_in_wi_sshift]
    v_mad_u32_u24 v[v_tmp+1], v[v_in_ihi], s[s_wi], v[v_in_iwi]
    v_mul_lo_u32 v[v_tmp+1], s[s_in_stride_wi], v[v_tmp+1]
    v_add_u32 v[v_in_os], v[v_tmp+1], v[v_co_sub_n_index]
    v_mul_lo_u32 v[v_tmp+1], s[s_in_stride_n], v[v_in_in]
    v_add_u32 v[v_in_os], v[v_tmp+1], v[v_in_os]
    v_cmp_gt_u32 vcc, s[s_n], v[v_in_in]
    v_cndmask_b32 v[v_tmp+1], 0, v[v_in_flag_c], vcc
    v_cmp_gt_u32 vcc, s[s_hi], v[v_in_ihi]
    v_cndmask_b32 v[v_in_flag], 0, v[v_tmp+1], vcc
    v_cmp_gt_u32 vcc, s[s_wi], v[v_in_iwi]
    v_cndmask_b32 v[v_in_flag], 0, v[v_in_flag], vcc
    s_waitcnt lgkmcnt(0)
    s_barrier
    ;   load from lds, i_ssgroup:0, num_sld_per_ssgroup:4
    ds_read_b128 v[v_c:v_c+3], v[v_co_sld] offset:0
    ds_read_b128 v[v_c+4:v_c+4+3], v[v_co_sld] offset:2048
    ds_read_b128 v[v_c+8:v_c+8+3], v[v_co_sld] offset:4096
	;; [unrolled: 1-line block ×3, first 2 shown]
    ;   store to global, m index start from 0, m0:0, m1:0
    s_waitcnt lgkmcnt(3)
    v_cmpx_le_u32 vcc, 1, v[v_in_flag]
    buffer_store_dword_m v[v_c], v[v_in_os], s[s_p_in:s_p_in+3], s[s_tmp] offen offset:0
    s_mov_b64 exec, -1
    v_add_u32 v[v_tmp], 1, v[v_in_inb]
    .mdiv_u32_rem_vs v_tmp+2,v_in_in,v_tmp,s_magic_3,s_shift_m3,s_dim_br,v_tmp+1
    .mdiv_u32_rem_vs v_in_iwi,v_in_ihi,v_tmp+2,s_magic_2,s_shift_m2,s_dslice_w,v_tmp+1
    v_mad_u32_u24 v[v_in_ihi], v[v_in_ihi], s[s_stride_h], v[v_in_hi_sshift]
    v_mad_u32_u24 v[v_in_iwi], v[v_in_iwi], s[s_stride_w], v[v_in_wi_sshift]
    v_mad_u32_u24 v[v_tmp+1], v[v_in_ihi], s[s_wi], v[v_in_iwi]
    v_mul_lo_u32 v[v_tmp+1], s[s_in_stride_wi], v[v_tmp+1]
    v_add_u32 v[v_in_os], v[v_tmp+1], v[v_co_sub_n_index]
    v_mul_lo_u32 v[v_tmp+1], s[s_in_stride_n], v[v_in_in]
    v_add_u32 v[v_in_os], v[v_tmp+1], v[v_in_os]
    v_cmp_gt_u32 vcc, s[s_n], v[v_in_in]
    v_cndmask_b32 v[v_tmp+1], 0, v[v_in_flag_c], vcc
    v_cmp_gt_u32 vcc, s[s_hi], v[v_in_ihi]
    v_cndmask_b32 v[v_in_flag], 0, v[v_tmp+1], vcc
    v_cmp_gt_u32 vcc, s[s_wi], v[v_in_iwi]
    v_cndmask_b32 v[v_in_flag], 0, v[v_in_flag], vcc
    v_cmpx_le_u32 vcc, 1, v[v_in_flag]
    buffer_store_dword_m v[v_c+1], v[v_in_os], s[s_p_in:s_p_in+3], s[s_tmp] offen offset:0
    s_mov_b64 exec, -1
    v_add_u32 v[v_tmp], 2, v[v_in_inb]
    .mdiv_u32_rem_vs v_tmp+2,v_in_in,v_tmp,s_magic_3,s_shift_m3,s_dim_br,v_tmp+1
    .mdiv_u32_rem_vs v_in_iwi,v_in_ihi,v_tmp+2,s_magic_2,s_shift_m2,s_dslice_w,v_tmp+1
    v_mad_u32_u24 v[v_in_ihi], v[v_in_ihi], s[s_stride_h], v[v_in_hi_sshift]
    v_mad_u32_u24 v[v_in_iwi], v[v_in_iwi], s[s_stride_w], v[v_in_wi_sshift]
    v_mad_u32_u24 v[v_tmp+1], v[v_in_ihi], s[s_wi], v[v_in_iwi]
    v_mul_lo_u32 v[v_tmp+1], s[s_in_stride_wi], v[v_tmp+1]
    v_add_u32 v[v_in_os], v[v_tmp+1], v[v_co_sub_n_index]
    v_mul_lo_u32 v[v_tmp+1], s[s_in_stride_n], v[v_in_in]
    v_add_u32 v[v_in_os], v[v_tmp+1], v[v_in_os]
    v_cmp_gt_u32 vcc, s[s_n], v[v_in_in]
    v_cndmask_b32 v[v_tmp+1], 0, v[v_in_flag_c], vcc
    v_cmp_gt_u32 vcc, s[s_hi], v[v_in_ihi]
    v_cndmask_b32 v[v_in_flag], 0, v[v_tmp+1], vcc
    v_cmp_gt_u32 vcc, s[s_wi], v[v_in_iwi]
    v_cndmask_b32 v[v_in_flag], 0, v[v_in_flag], vcc
    v_cmpx_le_u32 vcc, 1, v[v_in_flag]
    buffer_store_dword_m v[v_c+2], v[v_in_os], s[s_p_in:s_p_in+3], s[s_tmp] offen offset:0
    s_mov_b64 exec, -1
    v_add_u32 v[v_tmp], 3, v[v_in_inb]
    .mdiv_u32_rem_vs v_tmp+2,v_in_in,v_tmp,s_magic_3,s_shift_m3,s_dim_br,v_tmp+1
    .mdiv_u32_rem_vs v_in_iwi,v_in_ihi,v_tmp+2,s_magic_2,s_shift_m2,s_dslice_w,v_tmp+1
    v_mad_u32_u24 v[v_in_ihi], v[v_in_ihi], s[s_stride_h], v[v_in_hi_sshift]
    v_mad_u32_u24 v[v_in_iwi], v[v_in_iwi], s[s_stride_w], v[v_in_wi_sshift]
    v_mad_u32_u24 v[v_tmp+1], v[v_in_ihi], s[s_wi], v[v_in_iwi]
    v_mul_lo_u32 v[v_tmp+1], s[s_in_stride_wi], v[v_tmp+1]
    v_add_u32 v[v_in_os], v[v_tmp+1], v[v_co_sub_n_index]
    v_mul_lo_u32 v[v_tmp+1], s[s_in_stride_n], v[v_in_in]
    v_add_u32 v[v_in_os], v[v_tmp+1], v[v_in_os]
    v_cmp_gt_u32 vcc, s[s_n], v[v_in_in]
    v_cndmask_b32 v[v_tmp+1], 0, v[v_in_flag_c], vcc
    v_cmp_gt_u32 vcc, s[s_hi], v[v_in_ihi]
    v_cndmask_b32 v[v_in_flag], 0, v[v_tmp+1], vcc
    v_cmp_gt_u32 vcc, s[s_wi], v[v_in_iwi]
    v_cndmask_b32 v[v_in_flag], 0, v[v_in_flag], vcc
    v_cmpx_le_u32 vcc, 1, v[v_in_flag]
    buffer_store_dword_m v[v_c+3], v[v_in_os], s[s_p_in:s_p_in+3], s[s_tmp] offen offset:0
    s_mov_b64 exec, -1
    v_add_u32 v[v_tmp], 16, v[v_in_inb]
    .mdiv_u32_rem_vs v_tmp+2,v_in_in,v_tmp,s_magic_3,s_shift_m3,s_dim_br,v_tmp+1
    .mdiv_u32_rem_vs v_in_iwi,v_in_ihi,v_tmp+2,s_magic_2,s_shift_m2,s_dslice_w,v_tmp+1
    v_mad_u32_u24 v[v_in_ihi], v[v_in_ihi], s[s_stride_h], v[v_in_hi_sshift]
    v_mad_u32_u24 v[v_in_iwi], v[v_in_iwi], s[s_stride_w], v[v_in_wi_sshift]
    v_mad_u32_u24 v[v_tmp+1], v[v_in_ihi], s[s_wi], v[v_in_iwi]
    v_mul_lo_u32 v[v_tmp+1], s[s_in_stride_wi], v[v_tmp+1]
    v_add_u32 v[v_in_os], v[v_tmp+1], v[v_co_sub_n_index]
    v_mul_lo_u32 v[v_tmp+1], s[s_in_stride_n], v[v_in_in]
    v_add_u32 v[v_in_os], v[v_tmp+1], v[v_in_os]
    v_cmp_gt_u32 vcc, s[s_n], v[v_in_in]
    v_cndmask_b32 v[v_tmp+1], 0, v[v_in_flag_c], vcc
    v_cmp_gt_u32 vcc, s[s_hi], v[v_in_ihi]
    v_cndmask_b32 v[v_in_flag], 0, v[v_tmp+1], vcc
    v_cmp_gt_u32 vcc, s[s_wi], v[v_in_iwi]
    v_cndmask_b32 v[v_in_flag], 0, v[v_in_flag], vcc
    s_waitcnt lgkmcnt(2)
    v_cmpx_le_u32 vcc, 1, v[v_in_flag]
    buffer_store_dword_m v[v_c+4], v[v_in_os], s[s_p_in:s_p_in+3], s[s_tmp] offen offset:0
    s_mov_b64 exec, -1
    v_add_u32 v[v_tmp], 17, v[v_in_inb]
    .mdiv_u32_rem_vs v_tmp+2,v_in_in,v_tmp,s_magic_3,s_shift_m3,s_dim_br,v_tmp+1
    .mdiv_u32_rem_vs v_in_iwi,v_in_ihi,v_tmp+2,s_magic_2,s_shift_m2,s_dslice_w,v_tmp+1
    v_mad_u32_u24 v[v_in_ihi], v[v_in_ihi], s[s_stride_h], v[v_in_hi_sshift]
    v_mad_u32_u24 v[v_in_iwi], v[v_in_iwi], s[s_stride_w], v[v_in_wi_sshift]
    v_mad_u32_u24 v[v_tmp+1], v[v_in_ihi], s[s_wi], v[v_in_iwi]
    v_mul_lo_u32 v[v_tmp+1], s[s_in_stride_wi], v[v_tmp+1]
    v_add_u32 v[v_in_os], v[v_tmp+1], v[v_co_sub_n_index]
    v_mul_lo_u32 v[v_tmp+1], s[s_in_stride_n], v[v_in_in]
    v_add_u32 v[v_in_os], v[v_tmp+1], v[v_in_os]
    v_cmp_gt_u32 vcc, s[s_n], v[v_in_in]
    v_cndmask_b32 v[v_tmp+1], 0, v[v_in_flag_c], vcc
    v_cmp_gt_u32 vcc, s[s_hi], v[v_in_ihi]
    v_cndmask_b32 v[v_in_flag], 0, v[v_tmp+1], vcc
    v_cmp_gt_u32 vcc, s[s_wi], v[v_in_iwi]
    v_cndmask_b32 v[v_in_flag], 0, v[v_in_flag], vcc
    v_cmpx_le_u32 vcc, 1, v[v_in_flag]
    buffer_store_dword_m v[v_c+5], v[v_in_os], s[s_p_in:s_p_in+3], s[s_tmp] offen offset:0
    s_mov_b64 exec, -1
    v_add_u32 v[v_tmp], 18, v[v_in_inb]
    .mdiv_u32_rem_vs v_tmp+2,v_in_in,v_tmp,s_magic_3,s_shift_m3,s_dim_br,v_tmp+1
    .mdiv_u32_rem_vs v_in_iwi,v_in_ihi,v_tmp+2,s_magic_2,s_shift_m2,s_dslice_w,v_tmp+1
    v_mad_u32_u24 v[v_in_ihi], v[v_in_ihi], s[s_stride_h], v[v_in_hi_sshift]
    v_mad_u32_u24 v[v_in_iwi], v[v_in_iwi], s[s_stride_w], v[v_in_wi_sshift]
    v_mad_u32_u24 v[v_tmp+1], v[v_in_ihi], s[s_wi], v[v_in_iwi]
    v_mul_lo_u32 v[v_tmp+1], s[s_in_stride_wi], v[v_tmp+1]
    v_add_u32 v[v_in_os], v[v_tmp+1], v[v_co_sub_n_index]
    v_mul_lo_u32 v[v_tmp+1], s[s_in_stride_n], v[v_in_in]
    v_add_u32 v[v_in_os], v[v_tmp+1], v[v_in_os]
    v_cmp_gt_u32 vcc, s[s_n], v[v_in_in]
    v_cndmask_b32 v[v_tmp+1], 0, v[v_in_flag_c], vcc
    v_cmp_gt_u32 vcc, s[s_hi], v[v_in_ihi]
    v_cndmask_b32 v[v_in_flag], 0, v[v_tmp+1], vcc
    v_cmp_gt_u32 vcc, s[s_wi], v[v_in_iwi]
    v_cndmask_b32 v[v_in_flag], 0, v[v_in_flag], vcc
    v_cmpx_le_u32 vcc, 1, v[v_in_flag]
    buffer_store_dword_m v[v_c+6], v[v_in_os], s[s_p_in:s_p_in+3], s[s_tmp] offen offset:0
    s_mov_b64 exec, -1
    v_add_u32 v[v_tmp], 19, v[v_in_inb]
    .mdiv_u32_rem_vs v_tmp+2,v_in_in,v_tmp,s_magic_3,s_shift_m3,s_dim_br,v_tmp+1
    .mdiv_u32_rem_vs v_in_iwi,v_in_ihi,v_tmp+2,s_magic_2,s_shift_m2,s_dslice_w,v_tmp+1
    v_mad_u32_u24 v[v_in_ihi], v[v_in_ihi], s[s_stride_h], v[v_in_hi_sshift]
    v_mad_u32_u24 v[v_in_iwi], v[v_in_iwi], s[s_stride_w], v[v_in_wi_sshift]
    v_mad_u32_u24 v[v_tmp+1], v[v_in_ihi], s[s_wi], v[v_in_iwi]
    v_mul_lo_u32 v[v_tmp+1], s[s_in_stride_wi], v[v_tmp+1]
    v_add_u32 v[v_in_os], v[v_tmp+1], v[v_co_sub_n_index]
    v_mul_lo_u32 v[v_tmp+1], s[s_in_stride_n], v[v_in_in]
    v_add_u32 v[v_in_os], v[v_tmp+1], v[v_in_os]
    v_cmp_gt_u32 vcc, s[s_n], v[v_in_in]
    v_cndmask_b32 v[v_tmp+1], 0, v[v_in_flag_c], vcc
    v_cmp_gt_u32 vcc, s[s_hi], v[v_in_ihi]
    v_cndmask_b32 v[v_in_flag], 0, v[v_tmp+1], vcc
    v_cmp_gt_u32 vcc, s[s_wi], v[v_in_iwi]
    v_cndmask_b32 v[v_in_flag], 0, v[v_in_flag], vcc
    v_cmpx_le_u32 vcc, 1, v[v_in_flag]
    buffer_store_dword_m v[v_c+7], v[v_in_os], s[s_p_in:s_p_in+3], s[s_tmp] offen offset:0
    s_mov_b64 exec, -1
    v_add_u32 v[v_tmp], 64, v[v_in_inb]
    .mdiv_u32_rem_vs v_tmp+2,v_in_in,v_tmp,s_magic_3,s_shift_m3,s_dim_br,v_tmp+1
    .mdiv_u32_rem_vs v_in_iwi,v_in_ihi,v_tmp+2,s_magic_2,s_shift_m2,s_dslice_w,v_tmp+1
    v_mad_u32_u24 v[v_in_ihi], v[v_in_ihi], s[s_stride_h], v[v_in_hi_sshift]
    v_mad_u32_u24 v[v_in_iwi], v[v_in_iwi], s[s_stride_w], v[v_in_wi_sshift]
    v_mad_u32_u24 v[v_tmp+1], v[v_in_ihi], s[s_wi], v[v_in_iwi]
    v_mul_lo_u32 v[v_tmp+1], s[s_in_stride_wi], v[v_tmp+1]
    v_add_u32 v[v_in_os], v[v_tmp+1], v[v_co_sub_n_index]
    v_mul_lo_u32 v[v_tmp+1], s[s_in_stride_n], v[v_in_in]
    v_add_u32 v[v_in_os], v[v_tmp+1], v[v_in_os]
    v_cmp_gt_u32 vcc, s[s_n], v[v_in_in]
    v_cndmask_b32 v[v_tmp+1], 0, v[v_in_flag_c], vcc
    v_cmp_gt_u32 vcc, s[s_hi], v[v_in_ihi]
    v_cndmask_b32 v[v_in_flag], 0, v[v_tmp+1], vcc
    v_cmp_gt_u32 vcc, s[s_wi], v[v_in_iwi]
    v_cndmask_b32 v[v_in_flag], 0, v[v_in_flag], vcc
    s_waitcnt lgkmcnt(1)
    v_cmpx_le_u32 vcc, 1, v[v_in_flag]
    buffer_store_dword_m v[v_c+8], v[v_in_os], s[s_p_in:s_p_in+3], s[s_tmp] offen offset:0
    s_mov_b64 exec, -1
    v_add_u32 v[v_tmp], 65, v[v_in_inb]
    .mdiv_u32_rem_vs v_tmp+2,v_in_in,v_tmp,s_magic_3,s_shift_m3,s_dim_br,v_tmp+1
    .mdiv_u32_rem_vs v_in_iwi,v_in_ihi,v_tmp+2,s_magic_2,s_shift_m2,s_dslice_w,v_tmp+1
    v_mad_u32_u24 v[v_in_ihi], v[v_in_ihi], s[s_stride_h], v[v_in_hi_sshift]
    v_mad_u32_u24 v[v_in_iwi], v[v_in_iwi], s[s_stride_w], v[v_in_wi_sshift]
    v_mad_u32_u24 v[v_tmp+1], v[v_in_ihi], s[s_wi], v[v_in_iwi]
    v_mul_lo_u32 v[v_tmp+1], s[s_in_stride_wi], v[v_tmp+1]
    v_add_u32 v[v_in_os], v[v_tmp+1], v[v_co_sub_n_index]
    v_mul_lo_u32 v[v_tmp+1], s[s_in_stride_n], v[v_in_in]
    v_add_u32 v[v_in_os], v[v_tmp+1], v[v_in_os]
    v_cmp_gt_u32 vcc, s[s_n], v[v_in_in]
    v_cndmask_b32 v[v_tmp+1], 0, v[v_in_flag_c], vcc
    v_cmp_gt_u32 vcc, s[s_hi], v[v_in_ihi]
    v_cndmask_b32 v[v_in_flag], 0, v[v_tmp+1], vcc
    v_cmp_gt_u32 vcc, s[s_wi], v[v_in_iwi]
    v_cndmask_b32 v[v_in_flag], 0, v[v_in_flag], vcc
    v_cmpx_le_u32 vcc, 1, v[v_in_flag]
    buffer_store_dword_m v[v_c+9], v[v_in_os], s[s_p_in:s_p_in+3], s[s_tmp] offen offset:0
    s_mov_b64 exec, -1
    v_add_u32 v[v_tmp], 66, v[v_in_inb]
    .mdiv_u32_rem_vs v_tmp+2,v_in_in,v_tmp,s_magic_3,s_shift_m3,s_dim_br,v_tmp+1
    .mdiv_u32_rem_vs v_in_iwi,v_in_ihi,v_tmp+2,s_magic_2,s_shift_m2,s_dslice_w,v_tmp+1
    v_mad_u32_u24 v[v_in_ihi], v[v_in_ihi], s[s_stride_h], v[v_in_hi_sshift]
    v_mad_u32_u24 v[v_in_iwi], v[v_in_iwi], s[s_stride_w], v[v_in_wi_sshift]
    v_mad_u32_u24 v[v_tmp+1], v[v_in_ihi], s[s_wi], v[v_in_iwi]
    v_mul_lo_u32 v[v_tmp+1], s[s_in_stride_wi], v[v_tmp+1]
    v_add_u32 v[v_in_os], v[v_tmp+1], v[v_co_sub_n_index]
    v_mul_lo_u32 v[v_tmp+1], s[s_in_stride_n], v[v_in_in]
    v_add_u32 v[v_in_os], v[v_tmp+1], v[v_in_os]
    v_cmp_gt_u32 vcc, s[s_n], v[v_in_in]
    v_cndmask_b32 v[v_tmp+1], 0, v[v_in_flag_c], vcc
    v_cmp_gt_u32 vcc, s[s_hi], v[v_in_ihi]
    v_cndmask_b32 v[v_in_flag], 0, v[v_tmp+1], vcc
    v_cmp_gt_u32 vcc, s[s_wi], v[v_in_iwi]
    v_cndmask_b32 v[v_in_flag], 0, v[v_in_flag], vcc
    v_cmpx_le_u32 vcc, 1, v[v_in_flag]
    buffer_store_dword_m v[v_c+10], v[v_in_os], s[s_p_in:s_p_in+3], s[s_tmp] offen offset:0
    s_mov_b64 exec, -1
    v_add_u32 v[v_tmp], 67, v[v_in_inb]
    .mdiv_u32_rem_vs v_tmp+2,v_in_in,v_tmp,s_magic_3,s_shift_m3,s_dim_br,v_tmp+1
    .mdiv_u32_rem_vs v_in_iwi,v_in_ihi,v_tmp+2,s_magic_2,s_shift_m2,s_dslice_w,v_tmp+1
    v_mad_u32_u24 v[v_in_ihi], v[v_in_ihi], s[s_stride_h], v[v_in_hi_sshift]
    v_mad_u32_u24 v[v_in_iwi], v[v_in_iwi], s[s_stride_w], v[v_in_wi_sshift]
    v_mad_u32_u24 v[v_tmp+1], v[v_in_ihi], s[s_wi], v[v_in_iwi]
    v_mul_lo_u32 v[v_tmp+1], s[s_in_stride_wi], v[v_tmp+1]
    v_add_u32 v[v_in_os], v[v_tmp+1], v[v_co_sub_n_index]
    v_mul_lo_u32 v[v_tmp+1], s[s_in_stride_n], v[v_in_in]
    v_add_u32 v[v_in_os], v[v_tmp+1], v[v_in_os]
    v_cmp_gt_u32 vcc, s[s_n], v[v_in_in]
    v_cndmask_b32 v[v_tmp+1], 0, v[v_in_flag_c], vcc
    v_cmp_gt_u32 vcc, s[s_hi], v[v_in_ihi]
    v_cndmask_b32 v[v_in_flag], 0, v[v_tmp+1], vcc
    v_cmp_gt_u32 vcc, s[s_wi], v[v_in_iwi]
    v_cndmask_b32 v[v_in_flag], 0, v[v_in_flag], vcc
    v_cmpx_le_u32 vcc, 1, v[v_in_flag]
    buffer_store_dword_m v[v_c+11], v[v_in_os], s[s_p_in:s_p_in+3], s[s_tmp] offen offset:0
    s_mov_b64 exec, -1
    v_add_u32 v[v_tmp], 80, v[v_in_inb]
    .mdiv_u32_rem_vs v_tmp+2,v_in_in,v_tmp,s_magic_3,s_shift_m3,s_dim_br,v_tmp+1
    .mdiv_u32_rem_vs v_in_iwi,v_in_ihi,v_tmp+2,s_magic_2,s_shift_m2,s_dslice_w,v_tmp+1
    v_mad_u32_u24 v[v_in_ihi], v[v_in_ihi], s[s_stride_h], v[v_in_hi_sshift]
    v_mad_u32_u24 v[v_in_iwi], v[v_in_iwi], s[s_stride_w], v[v_in_wi_sshift]
    v_mad_u32_u24 v[v_tmp+1], v[v_in_ihi], s[s_wi], v[v_in_iwi]
    v_mul_lo_u32 v[v_tmp+1], s[s_in_stride_wi], v[v_tmp+1]
    v_add_u32 v[v_in_os], v[v_tmp+1], v[v_co_sub_n_index]
    v_mul_lo_u32 v[v_tmp+1], s[s_in_stride_n], v[v_in_in]
    v_add_u32 v[v_in_os], v[v_tmp+1], v[v_in_os]
    v_cmp_gt_u32 vcc, s[s_n], v[v_in_in]
    v_cndmask_b32 v[v_tmp+1], 0, v[v_in_flag_c], vcc
    v_cmp_gt_u32 vcc, s[s_hi], v[v_in_ihi]
    v_cndmask_b32 v[v_in_flag], 0, v[v_tmp+1], vcc
    v_cmp_gt_u32 vcc, s[s_wi], v[v_in_iwi]
    v_cndmask_b32 v[v_in_flag], 0, v[v_in_flag], vcc
    s_waitcnt lgkmcnt(0)
    v_cmpx_le_u32 vcc, 1, v[v_in_flag]
    buffer_store_dword_m v[v_c+12], v[v_in_os], s[s_p_in:s_p_in+3], s[s_tmp] offen offset:0
    s_mov_b64 exec, -1
    v_add_u32 v[v_tmp], 81, v[v_in_inb]
    .mdiv_u32_rem_vs v_tmp+2,v_in_in,v_tmp,s_magic_3,s_shift_m3,s_dim_br,v_tmp+1
    .mdiv_u32_rem_vs v_in_iwi,v_in_ihi,v_tmp+2,s_magic_2,s_shift_m2,s_dslice_w,v_tmp+1
    v_mad_u32_u24 v[v_in_ihi], v[v_in_ihi], s[s_stride_h], v[v_in_hi_sshift]
    v_mad_u32_u24 v[v_in_iwi], v[v_in_iwi], s[s_stride_w], v[v_in_wi_sshift]
    v_mad_u32_u24 v[v_tmp+1], v[v_in_ihi], s[s_wi], v[v_in_iwi]
    v_mul_lo_u32 v[v_tmp+1], s[s_in_stride_wi], v[v_tmp+1]
    v_add_u32 v[v_in_os], v[v_tmp+1], v[v_co_sub_n_index]
    v_mul_lo_u32 v[v_tmp+1], s[s_in_stride_n], v[v_in_in]
    v_add_u32 v[v_in_os], v[v_tmp+1], v[v_in_os]
    v_cmp_gt_u32 vcc, s[s_n], v[v_in_in]
    v_cndmask_b32 v[v_tmp+1], 0, v[v_in_flag_c], vcc
    v_cmp_gt_u32 vcc, s[s_hi], v[v_in_ihi]
    v_cndmask_b32 v[v_in_flag], 0, v[v_tmp+1], vcc
    v_cmp_gt_u32 vcc, s[s_wi], v[v_in_iwi]
    v_cndmask_b32 v[v_in_flag], 0, v[v_in_flag], vcc
    v_cmpx_le_u32 vcc, 1, v[v_in_flag]
    buffer_store_dword_m v[v_c+13], v[v_in_os], s[s_p_in:s_p_in+3], s[s_tmp] offen offset:0
    s_mov_b64 exec, -1
    v_add_u32 v[v_tmp], 82, v[v_in_inb]
    .mdiv_u32_rem_vs v_tmp+2,v_in_in,v_tmp,s_magic_3,s_shift_m3,s_dim_br,v_tmp+1
    .mdiv_u32_rem_vs v_in_iwi,v_in_ihi,v_tmp+2,s_magic_2,s_shift_m2,s_dslice_w,v_tmp+1
    v_mad_u32_u24 v[v_in_ihi], v[v_in_ihi], s[s_stride_h], v[v_in_hi_sshift]
    v_mad_u32_u24 v[v_in_iwi], v[v_in_iwi], s[s_stride_w], v[v_in_wi_sshift]
    v_mad_u32_u24 v[v_tmp+1], v[v_in_ihi], s[s_wi], v[v_in_iwi]
    v_mul_lo_u32 v[v_tmp+1], s[s_in_stride_wi], v[v_tmp+1]
    v_add_u32 v[v_in_os], v[v_tmp+1], v[v_co_sub_n_index]
    v_mul_lo_u32 v[v_tmp+1], s[s_in_stride_n], v[v_in_in]
    v_add_u32 v[v_in_os], v[v_tmp+1], v[v_in_os]
    v_cmp_gt_u32 vcc, s[s_n], v[v_in_in]
    v_cndmask_b32 v[v_tmp+1], 0, v[v_in_flag_c], vcc
    v_cmp_gt_u32 vcc, s[s_hi], v[v_in_ihi]
    v_cndmask_b32 v[v_in_flag], 0, v[v_tmp+1], vcc
    v_cmp_gt_u32 vcc, s[s_wi], v[v_in_iwi]
    v_cndmask_b32 v[v_in_flag], 0, v[v_in_flag], vcc
    v_cmpx_le_u32 vcc, 1, v[v_in_flag]
    buffer_store_dword_m v[v_c+14], v[v_in_os], s[s_p_in:s_p_in+3], s[s_tmp] offen offset:0
    s_mov_b64 exec, -1
    v_add_u32 v[v_tmp], 83, v[v_in_inb]
    .mdiv_u32_rem_vs v_tmp+2,v_in_in,v_tmp,s_magic_3,s_shift_m3,s_dim_br,v_tmp+1
    .mdiv_u32_rem_vs v_in_iwi,v_in_ihi,v_tmp+2,s_magic_2,s_shift_m2,s_dslice_w,v_tmp+1
    v_mad_u32_u24 v[v_in_ihi], v[v_in_ihi], s[s_stride_h], v[v_in_hi_sshift]
    v_mad_u32_u24 v[v_in_iwi], v[v_in_iwi], s[s_stride_w], v[v_in_wi_sshift]
    v_mad_u32_u24 v[v_tmp+1], v[v_in_ihi], s[s_wi], v[v_in_iwi]
    v_mul_lo_u32 v[v_tmp+1], s[s_in_stride_wi], v[v_tmp+1]
    v_add_u32 v[v_in_os], v[v_tmp+1], v[v_co_sub_n_index]
    v_mul_lo_u32 v[v_tmp+1], s[s_in_stride_n], v[v_in_in]
    v_add_u32 v[v_in_os], v[v_tmp+1], v[v_in_os]
    v_cmp_gt_u32 vcc, s[s_n], v[v_in_in]
    v_cndmask_b32 v[v_tmp+1], 0, v[v_in_flag_c], vcc
    v_cmp_gt_u32 vcc, s[s_hi], v[v_in_ihi]
    v_cndmask_b32 v[v_in_flag], 0, v[v_tmp+1], vcc
    v_cmp_gt_u32 vcc, s[s_wi], v[v_in_iwi]
    v_cndmask_b32 v[v_in_flag], 0, v[v_in_flag], vcc
    v_cmpx_le_u32 vcc, 1, v[v_in_flag]
    buffer_store_dword_m v[v_c+15], v[v_in_os], s[s_p_in:s_p_in+3], s[s_tmp] offen offset:0
    s_mov_b64 exec, -1
    ; start group 1, i_g_mr:0, i_g_ms:0, i_g_mw:1, i_g_mb:0, i_g_mt:0, m index start from 32
    s_barrier
    ds_write_b128 v[v_co_sst], v[a_c+16:a_c+16+3]    ; idword:0(0,0),  0x0 | /4, i_mr:0, i_ms:0, i_mw:0, i_mb:0  x  i_nr:0, i_ns:0, i_nw:0
    ds_write_b128 v[v_co_sst], v[a_c+20:a_c+20+3] offset:1024   ; idword:64(2,0),  2x0 | /4, i_mr:0, i_ms:0, i_mw:0, i_mb:1  x  i_nr:0, i_ns:0, i_nw:0
    ds_write_b128 v[v_co_sst], v[a_c+24:a_c+24+3] offset:2048   ; idword:128(4,0),  4x0 | /4, i_mr:0, i_ms:0, i_mw:0, i_mb:2  x  i_nr:0, i_ns:0, i_nw:0
    ds_write_b128 v[v_co_sst], v[a_c+28:a_c+28+3] offset:3072   ; idword:192(6,0),  6x0 | /4, i_mr:0, i_ms:0, i_mw:0, i_mb:3  x  i_nr:0, i_ns:0, i_nw:0
    v_add_u32 v[v_tmp], 32, v[v_in_inb]
    .mdiv_u32_rem_vs v_tmp+2,v_in_in,v_tmp,s_magic_3,s_shift_m3,s_dim_br,v_tmp+1
    .mdiv_u32_rem_vs v_in_iwi,v_in_ihi,v_tmp+2,s_magic_2,s_shift_m2,s_dslice_w,v_tmp+1
    v_mad_u32_u24 v[v_in_ihi], v[v_in_ihi], s[s_stride_h], v[v_in_hi_sshift]
    v_mad_u32_u24 v[v_in_iwi], v[v_in_iwi], s[s_stride_w], v[v_in_wi_sshift]
    v_mad_u32_u24 v[v_tmp+1], v[v_in_ihi], s[s_wi], v[v_in_iwi]
    v_mul_lo_u32 v[v_tmp+1], s[s_in_stride_wi], v[v_tmp+1]
    v_add_u32 v[v_in_os], v[v_tmp+1], v[v_co_sub_n_index]
    v_mul_lo_u32 v[v_tmp+1], s[s_in_stride_n], v[v_in_in]
    v_add_u32 v[v_in_os], v[v_tmp+1], v[v_in_os]
    v_cmp_gt_u32 vcc, s[s_n], v[v_in_in]
    v_cndmask_b32 v[v_tmp+1], 0, v[v_in_flag_c], vcc
    v_cmp_gt_u32 vcc, s[s_hi], v[v_in_ihi]
    v_cndmask_b32 v[v_in_flag], 0, v[v_tmp+1], vcc
    v_cmp_gt_u32 vcc, s[s_wi], v[v_in_iwi]
    v_cndmask_b32 v[v_in_flag], 0, v[v_in_flag], vcc
    s_waitcnt lgkmcnt(0)
    s_barrier
    ;   load from lds, i_ssgroup:0, num_sld_per_ssgroup:4
    ds_read_b128 v[v_c:v_c+3], v[v_co_sld] offset:0
    ds_read_b128 v[v_c+4:v_c+4+3], v[v_co_sld] offset:2048
    ds_read_b128 v[v_c+8:v_c+8+3], v[v_co_sld] offset:4096
	;; [unrolled: 1-line block ×3, first 2 shown]
    ;   store to global, m index start from 32, m0:1, m1:0
    s_waitcnt lgkmcnt(3)
    v_cmpx_le_u32 vcc, 1, v[v_in_flag]
    buffer_store_dword_m v[v_c], v[v_in_os], s[s_p_in:s_p_in+3], s[s_tmp] offen offset:0
    s_mov_b64 exec, -1
    v_add_u32 v[v_tmp], 33, v[v_in_inb]
    .mdiv_u32_rem_vs v_tmp+2,v_in_in,v_tmp,s_magic_3,s_shift_m3,s_dim_br,v_tmp+1
    .mdiv_u32_rem_vs v_in_iwi,v_in_ihi,v_tmp+2,s_magic_2,s_shift_m2,s_dslice_w,v_tmp+1
    v_mad_u32_u24 v[v_in_ihi], v[v_in_ihi], s[s_stride_h], v[v_in_hi_sshift]
    v_mad_u32_u24 v[v_in_iwi], v[v_in_iwi], s[s_stride_w], v[v_in_wi_sshift]
    v_mad_u32_u24 v[v_tmp+1], v[v_in_ihi], s[s_wi], v[v_in_iwi]
    v_mul_lo_u32 v[v_tmp+1], s[s_in_stride_wi], v[v_tmp+1]
    v_add_u32 v[v_in_os], v[v_tmp+1], v[v_co_sub_n_index]
    v_mul_lo_u32 v[v_tmp+1], s[s_in_stride_n], v[v_in_in]
    v_add_u32 v[v_in_os], v[v_tmp+1], v[v_in_os]
    v_cmp_gt_u32 vcc, s[s_n], v[v_in_in]
    v_cndmask_b32 v[v_tmp+1], 0, v[v_in_flag_c], vcc
    v_cmp_gt_u32 vcc, s[s_hi], v[v_in_ihi]
    v_cndmask_b32 v[v_in_flag], 0, v[v_tmp+1], vcc
    v_cmp_gt_u32 vcc, s[s_wi], v[v_in_iwi]
    v_cndmask_b32 v[v_in_flag], 0, v[v_in_flag], vcc
    v_cmpx_le_u32 vcc, 1, v[v_in_flag]
    buffer_store_dword_m v[v_c+1], v[v_in_os], s[s_p_in:s_p_in+3], s[s_tmp] offen offset:0
    s_mov_b64 exec, -1
    v_add_u32 v[v_tmp], 34, v[v_in_inb]
    .mdiv_u32_rem_vs v_tmp+2,v_in_in,v_tmp,s_magic_3,s_shift_m3,s_dim_br,v_tmp+1
    .mdiv_u32_rem_vs v_in_iwi,v_in_ihi,v_tmp+2,s_magic_2,s_shift_m2,s_dslice_w,v_tmp+1
    v_mad_u32_u24 v[v_in_ihi], v[v_in_ihi], s[s_stride_h], v[v_in_hi_sshift]
    v_mad_u32_u24 v[v_in_iwi], v[v_in_iwi], s[s_stride_w], v[v_in_wi_sshift]
    v_mad_u32_u24 v[v_tmp+1], v[v_in_ihi], s[s_wi], v[v_in_iwi]
    v_mul_lo_u32 v[v_tmp+1], s[s_in_stride_wi], v[v_tmp+1]
    v_add_u32 v[v_in_os], v[v_tmp+1], v[v_co_sub_n_index]
    v_mul_lo_u32 v[v_tmp+1], s[s_in_stride_n], v[v_in_in]
    v_add_u32 v[v_in_os], v[v_tmp+1], v[v_in_os]
    v_cmp_gt_u32 vcc, s[s_n], v[v_in_in]
    v_cndmask_b32 v[v_tmp+1], 0, v[v_in_flag_c], vcc
    v_cmp_gt_u32 vcc, s[s_hi], v[v_in_ihi]
    v_cndmask_b32 v[v_in_flag], 0, v[v_tmp+1], vcc
    v_cmp_gt_u32 vcc, s[s_wi], v[v_in_iwi]
    v_cndmask_b32 v[v_in_flag], 0, v[v_in_flag], vcc
    v_cmpx_le_u32 vcc, 1, v[v_in_flag]
    buffer_store_dword_m v[v_c+2], v[v_in_os], s[s_p_in:s_p_in+3], s[s_tmp] offen offset:0
    s_mov_b64 exec, -1
    v_add_u32 v[v_tmp], 35, v[v_in_inb]
    .mdiv_u32_rem_vs v_tmp+2,v_in_in,v_tmp,s_magic_3,s_shift_m3,s_dim_br,v_tmp+1
    .mdiv_u32_rem_vs v_in_iwi,v_in_ihi,v_tmp+2,s_magic_2,s_shift_m2,s_dslice_w,v_tmp+1
    v_mad_u32_u24 v[v_in_ihi], v[v_in_ihi], s[s_stride_h], v[v_in_hi_sshift]
    v_mad_u32_u24 v[v_in_iwi], v[v_in_iwi], s[s_stride_w], v[v_in_wi_sshift]
    v_mad_u32_u24 v[v_tmp+1], v[v_in_ihi], s[s_wi], v[v_in_iwi]
    v_mul_lo_u32 v[v_tmp+1], s[s_in_stride_wi], v[v_tmp+1]
    v_add_u32 v[v_in_os], v[v_tmp+1], v[v_co_sub_n_index]
    v_mul_lo_u32 v[v_tmp+1], s[s_in_stride_n], v[v_in_in]
    v_add_u32 v[v_in_os], v[v_tmp+1], v[v_in_os]
    v_cmp_gt_u32 vcc, s[s_n], v[v_in_in]
    v_cndmask_b32 v[v_tmp+1], 0, v[v_in_flag_c], vcc
    v_cmp_gt_u32 vcc, s[s_hi], v[v_in_ihi]
    v_cndmask_b32 v[v_in_flag], 0, v[v_tmp+1], vcc
    v_cmp_gt_u32 vcc, s[s_wi], v[v_in_iwi]
    v_cndmask_b32 v[v_in_flag], 0, v[v_in_flag], vcc
    v_cmpx_le_u32 vcc, 1, v[v_in_flag]
    buffer_store_dword_m v[v_c+3], v[v_in_os], s[s_p_in:s_p_in+3], s[s_tmp] offen offset:0
    s_mov_b64 exec, -1
    v_add_u32 v[v_tmp], 48, v[v_in_inb]
    .mdiv_u32_rem_vs v_tmp+2,v_in_in,v_tmp,s_magic_3,s_shift_m3,s_dim_br,v_tmp+1
    .mdiv_u32_rem_vs v_in_iwi,v_in_ihi,v_tmp+2,s_magic_2,s_shift_m2,s_dslice_w,v_tmp+1
    v_mad_u32_u24 v[v_in_ihi], v[v_in_ihi], s[s_stride_h], v[v_in_hi_sshift]
    v_mad_u32_u24 v[v_in_iwi], v[v_in_iwi], s[s_stride_w], v[v_in_wi_sshift]
    v_mad_u32_u24 v[v_tmp+1], v[v_in_ihi], s[s_wi], v[v_in_iwi]
    v_mul_lo_u32 v[v_tmp+1], s[s_in_stride_wi], v[v_tmp+1]
    v_add_u32 v[v_in_os], v[v_tmp+1], v[v_co_sub_n_index]
    v_mul_lo_u32 v[v_tmp+1], s[s_in_stride_n], v[v_in_in]
    v_add_u32 v[v_in_os], v[v_tmp+1], v[v_in_os]
    v_cmp_gt_u32 vcc, s[s_n], v[v_in_in]
    v_cndmask_b32 v[v_tmp+1], 0, v[v_in_flag_c], vcc
    v_cmp_gt_u32 vcc, s[s_hi], v[v_in_ihi]
    v_cndmask_b32 v[v_in_flag], 0, v[v_tmp+1], vcc
    v_cmp_gt_u32 vcc, s[s_wi], v[v_in_iwi]
    v_cndmask_b32 v[v_in_flag], 0, v[v_in_flag], vcc
    s_waitcnt lgkmcnt(2)
    v_cmpx_le_u32 vcc, 1, v[v_in_flag]
    buffer_store_dword_m v[v_c+4], v[v_in_os], s[s_p_in:s_p_in+3], s[s_tmp] offen offset:0
    s_mov_b64 exec, -1
    v_add_u32 v[v_tmp], 49, v[v_in_inb]
    .mdiv_u32_rem_vs v_tmp+2,v_in_in,v_tmp,s_magic_3,s_shift_m3,s_dim_br,v_tmp+1
    .mdiv_u32_rem_vs v_in_iwi,v_in_ihi,v_tmp+2,s_magic_2,s_shift_m2,s_dslice_w,v_tmp+1
    v_mad_u32_u24 v[v_in_ihi], v[v_in_ihi], s[s_stride_h], v[v_in_hi_sshift]
    v_mad_u32_u24 v[v_in_iwi], v[v_in_iwi], s[s_stride_w], v[v_in_wi_sshift]
    v_mad_u32_u24 v[v_tmp+1], v[v_in_ihi], s[s_wi], v[v_in_iwi]
    v_mul_lo_u32 v[v_tmp+1], s[s_in_stride_wi], v[v_tmp+1]
    v_add_u32 v[v_in_os], v[v_tmp+1], v[v_co_sub_n_index]
    v_mul_lo_u32 v[v_tmp+1], s[s_in_stride_n], v[v_in_in]
    v_add_u32 v[v_in_os], v[v_tmp+1], v[v_in_os]
    v_cmp_gt_u32 vcc, s[s_n], v[v_in_in]
    v_cndmask_b32 v[v_tmp+1], 0, v[v_in_flag_c], vcc
    v_cmp_gt_u32 vcc, s[s_hi], v[v_in_ihi]
    v_cndmask_b32 v[v_in_flag], 0, v[v_tmp+1], vcc
    v_cmp_gt_u32 vcc, s[s_wi], v[v_in_iwi]
    v_cndmask_b32 v[v_in_flag], 0, v[v_in_flag], vcc
    v_cmpx_le_u32 vcc, 1, v[v_in_flag]
    buffer_store_dword_m v[v_c+5], v[v_in_os], s[s_p_in:s_p_in+3], s[s_tmp] offen offset:0
    s_mov_b64 exec, -1
    v_add_u32 v[v_tmp], 50, v[v_in_inb]
    .mdiv_u32_rem_vs v_tmp+2,v_in_in,v_tmp,s_magic_3,s_shift_m3,s_dim_br,v_tmp+1
    .mdiv_u32_rem_vs v_in_iwi,v_in_ihi,v_tmp+2,s_magic_2,s_shift_m2,s_dslice_w,v_tmp+1
    v_mad_u32_u24 v[v_in_ihi], v[v_in_ihi], s[s_stride_h], v[v_in_hi_sshift]
    v_mad_u32_u24 v[v_in_iwi], v[v_in_iwi], s[s_stride_w], v[v_in_wi_sshift]
    v_mad_u32_u24 v[v_tmp+1], v[v_in_ihi], s[s_wi], v[v_in_iwi]
    v_mul_lo_u32 v[v_tmp+1], s[s_in_stride_wi], v[v_tmp+1]
    v_add_u32 v[v_in_os], v[v_tmp+1], v[v_co_sub_n_index]
    v_mul_lo_u32 v[v_tmp+1], s[s_in_stride_n], v[v_in_in]
    v_add_u32 v[v_in_os], v[v_tmp+1], v[v_in_os]
    v_cmp_gt_u32 vcc, s[s_n], v[v_in_in]
    v_cndmask_b32 v[v_tmp+1], 0, v[v_in_flag_c], vcc
    v_cmp_gt_u32 vcc, s[s_hi], v[v_in_ihi]
    v_cndmask_b32 v[v_in_flag], 0, v[v_tmp+1], vcc
    v_cmp_gt_u32 vcc, s[s_wi], v[v_in_iwi]
    v_cndmask_b32 v[v_in_flag], 0, v[v_in_flag], vcc
    v_cmpx_le_u32 vcc, 1, v[v_in_flag]
    buffer_store_dword_m v[v_c+6], v[v_in_os], s[s_p_in:s_p_in+3], s[s_tmp] offen offset:0
    s_mov_b64 exec, -1
    v_add_u32 v[v_tmp], 51, v[v_in_inb]
    .mdiv_u32_rem_vs v_tmp+2,v_in_in,v_tmp,s_magic_3,s_shift_m3,s_dim_br,v_tmp+1
    .mdiv_u32_rem_vs v_in_iwi,v_in_ihi,v_tmp+2,s_magic_2,s_shift_m2,s_dslice_w,v_tmp+1
    v_mad_u32_u24 v[v_in_ihi], v[v_in_ihi], s[s_stride_h], v[v_in_hi_sshift]
    v_mad_u32_u24 v[v_in_iwi], v[v_in_iwi], s[s_stride_w], v[v_in_wi_sshift]
    v_mad_u32_u24 v[v_tmp+1], v[v_in_ihi], s[s_wi], v[v_in_iwi]
    v_mul_lo_u32 v[v_tmp+1], s[s_in_stride_wi], v[v_tmp+1]
    v_add_u32 v[v_in_os], v[v_tmp+1], v[v_co_sub_n_index]
    v_mul_lo_u32 v[v_tmp+1], s[s_in_stride_n], v[v_in_in]
    v_add_u32 v[v_in_os], v[v_tmp+1], v[v_in_os]
    v_cmp_gt_u32 vcc, s[s_n], v[v_in_in]
    v_cndmask_b32 v[v_tmp+1], 0, v[v_in_flag_c], vcc
    v_cmp_gt_u32 vcc, s[s_hi], v[v_in_ihi]
    v_cndmask_b32 v[v_in_flag], 0, v[v_tmp+1], vcc
    v_cmp_gt_u32 vcc, s[s_wi], v[v_in_iwi]
    v_cndmask_b32 v[v_in_flag], 0, v[v_in_flag], vcc
    v_cmpx_le_u32 vcc, 1, v[v_in_flag]
    buffer_store_dword_m v[v_c+7], v[v_in_os], s[s_p_in:s_p_in+3], s[s_tmp] offen offset:0
    s_mov_b64 exec, -1
    v_add_u32 v[v_tmp], 96, v[v_in_inb]
    .mdiv_u32_rem_vs v_tmp+2,v_in_in,v_tmp,s_magic_3,s_shift_m3,s_dim_br,v_tmp+1
    .mdiv_u32_rem_vs v_in_iwi,v_in_ihi,v_tmp+2,s_magic_2,s_shift_m2,s_dslice_w,v_tmp+1
    v_mad_u32_u24 v[v_in_ihi], v[v_in_ihi], s[s_stride_h], v[v_in_hi_sshift]
    v_mad_u32_u24 v[v_in_iwi], v[v_in_iwi], s[s_stride_w], v[v_in_wi_sshift]
    v_mad_u32_u24 v[v_tmp+1], v[v_in_ihi], s[s_wi], v[v_in_iwi]
    v_mul_lo_u32 v[v_tmp+1], s[s_in_stride_wi], v[v_tmp+1]
    v_add_u32 v[v_in_os], v[v_tmp+1], v[v_co_sub_n_index]
    v_mul_lo_u32 v[v_tmp+1], s[s_in_stride_n], v[v_in_in]
    v_add_u32 v[v_in_os], v[v_tmp+1], v[v_in_os]
    v_cmp_gt_u32 vcc, s[s_n], v[v_in_in]
    v_cndmask_b32 v[v_tmp+1], 0, v[v_in_flag_c], vcc
    v_cmp_gt_u32 vcc, s[s_hi], v[v_in_ihi]
    v_cndmask_b32 v[v_in_flag], 0, v[v_tmp+1], vcc
    v_cmp_gt_u32 vcc, s[s_wi], v[v_in_iwi]
    v_cndmask_b32 v[v_in_flag], 0, v[v_in_flag], vcc
    s_waitcnt lgkmcnt(1)
    v_cmpx_le_u32 vcc, 1, v[v_in_flag]
    buffer_store_dword_m v[v_c+8], v[v_in_os], s[s_p_in:s_p_in+3], s[s_tmp] offen offset:0
    s_mov_b64 exec, -1
    v_add_u32 v[v_tmp], 97, v[v_in_inb]
    .mdiv_u32_rem_vs v_tmp+2,v_in_in,v_tmp,s_magic_3,s_shift_m3,s_dim_br,v_tmp+1
    .mdiv_u32_rem_vs v_in_iwi,v_in_ihi,v_tmp+2,s_magic_2,s_shift_m2,s_dslice_w,v_tmp+1
    v_mad_u32_u24 v[v_in_ihi], v[v_in_ihi], s[s_stride_h], v[v_in_hi_sshift]
    v_mad_u32_u24 v[v_in_iwi], v[v_in_iwi], s[s_stride_w], v[v_in_wi_sshift]
    v_mad_u32_u24 v[v_tmp+1], v[v_in_ihi], s[s_wi], v[v_in_iwi]
    v_mul_lo_u32 v[v_tmp+1], s[s_in_stride_wi], v[v_tmp+1]
    v_add_u32 v[v_in_os], v[v_tmp+1], v[v_co_sub_n_index]
    v_mul_lo_u32 v[v_tmp+1], s[s_in_stride_n], v[v_in_in]
    v_add_u32 v[v_in_os], v[v_tmp+1], v[v_in_os]
    v_cmp_gt_u32 vcc, s[s_n], v[v_in_in]
    v_cndmask_b32 v[v_tmp+1], 0, v[v_in_flag_c], vcc
    v_cmp_gt_u32 vcc, s[s_hi], v[v_in_ihi]
    v_cndmask_b32 v[v_in_flag], 0, v[v_tmp+1], vcc
    v_cmp_gt_u32 vcc, s[s_wi], v[v_in_iwi]
    v_cndmask_b32 v[v_in_flag], 0, v[v_in_flag], vcc
    v_cmpx_le_u32 vcc, 1, v[v_in_flag]
    buffer_store_dword_m v[v_c+9], v[v_in_os], s[s_p_in:s_p_in+3], s[s_tmp] offen offset:0
    s_mov_b64 exec, -1
    v_add_u32 v[v_tmp], 98, v[v_in_inb]
    .mdiv_u32_rem_vs v_tmp+2,v_in_in,v_tmp,s_magic_3,s_shift_m3,s_dim_br,v_tmp+1
    .mdiv_u32_rem_vs v_in_iwi,v_in_ihi,v_tmp+2,s_magic_2,s_shift_m2,s_dslice_w,v_tmp+1
    v_mad_u32_u24 v[v_in_ihi], v[v_in_ihi], s[s_stride_h], v[v_in_hi_sshift]
    v_mad_u32_u24 v[v_in_iwi], v[v_in_iwi], s[s_stride_w], v[v_in_wi_sshift]
    v_mad_u32_u24 v[v_tmp+1], v[v_in_ihi], s[s_wi], v[v_in_iwi]
    v_mul_lo_u32 v[v_tmp+1], s[s_in_stride_wi], v[v_tmp+1]
    v_add_u32 v[v_in_os], v[v_tmp+1], v[v_co_sub_n_index]
    v_mul_lo_u32 v[v_tmp+1], s[s_in_stride_n], v[v_in_in]
    v_add_u32 v[v_in_os], v[v_tmp+1], v[v_in_os]
    v_cmp_gt_u32 vcc, s[s_n], v[v_in_in]
    v_cndmask_b32 v[v_tmp+1], 0, v[v_in_flag_c], vcc
    v_cmp_gt_u32 vcc, s[s_hi], v[v_in_ihi]
    v_cndmask_b32 v[v_in_flag], 0, v[v_tmp+1], vcc
    v_cmp_gt_u32 vcc, s[s_wi], v[v_in_iwi]
    v_cndmask_b32 v[v_in_flag], 0, v[v_in_flag], vcc
    v_cmpx_le_u32 vcc, 1, v[v_in_flag]
    buffer_store_dword_m v[v_c+10], v[v_in_os], s[s_p_in:s_p_in+3], s[s_tmp] offen offset:0
    s_mov_b64 exec, -1
    v_add_u32 v[v_tmp], 99, v[v_in_inb]
    .mdiv_u32_rem_vs v_tmp+2,v_in_in,v_tmp,s_magic_3,s_shift_m3,s_dim_br,v_tmp+1
    .mdiv_u32_rem_vs v_in_iwi,v_in_ihi,v_tmp+2,s_magic_2,s_shift_m2,s_dslice_w,v_tmp+1
    v_mad_u32_u24 v[v_in_ihi], v[v_in_ihi], s[s_stride_h], v[v_in_hi_sshift]
    v_mad_u32_u24 v[v_in_iwi], v[v_in_iwi], s[s_stride_w], v[v_in_wi_sshift]
    v_mad_u32_u24 v[v_tmp+1], v[v_in_ihi], s[s_wi], v[v_in_iwi]
    v_mul_lo_u32 v[v_tmp+1], s[s_in_stride_wi], v[v_tmp+1]
    v_add_u32 v[v_in_os], v[v_tmp+1], v[v_co_sub_n_index]
    v_mul_lo_u32 v[v_tmp+1], s[s_in_stride_n], v[v_in_in]
    v_add_u32 v[v_in_os], v[v_tmp+1], v[v_in_os]
    v_cmp_gt_u32 vcc, s[s_n], v[v_in_in]
    v_cndmask_b32 v[v_tmp+1], 0, v[v_in_flag_c], vcc
    v_cmp_gt_u32 vcc, s[s_hi], v[v_in_ihi]
    v_cndmask_b32 v[v_in_flag], 0, v[v_tmp+1], vcc
    v_cmp_gt_u32 vcc, s[s_wi], v[v_in_iwi]
    v_cndmask_b32 v[v_in_flag], 0, v[v_in_flag], vcc
    v_cmpx_le_u32 vcc, 1, v[v_in_flag]
    buffer_store_dword_m v[v_c+11], v[v_in_os], s[s_p_in:s_p_in+3], s[s_tmp] offen offset:0
    s_mov_b64 exec, -1
    v_add_u32 v[v_tmp], 112, v[v_in_inb]
    .mdiv_u32_rem_vs v_tmp+2,v_in_in,v_tmp,s_magic_3,s_shift_m3,s_dim_br,v_tmp+1
    .mdiv_u32_rem_vs v_in_iwi,v_in_ihi,v_tmp+2,s_magic_2,s_shift_m2,s_dslice_w,v_tmp+1
    v_mad_u32_u24 v[v_in_ihi], v[v_in_ihi], s[s_stride_h], v[v_in_hi_sshift]
    v_mad_u32_u24 v[v_in_iwi], v[v_in_iwi], s[s_stride_w], v[v_in_wi_sshift]
    v_mad_u32_u24 v[v_tmp+1], v[v_in_ihi], s[s_wi], v[v_in_iwi]
    v_mul_lo_u32 v[v_tmp+1], s[s_in_stride_wi], v[v_tmp+1]
    v_add_u32 v[v_in_os], v[v_tmp+1], v[v_co_sub_n_index]
    v_mul_lo_u32 v[v_tmp+1], s[s_in_stride_n], v[v_in_in]
    v_add_u32 v[v_in_os], v[v_tmp+1], v[v_in_os]
    v_cmp_gt_u32 vcc, s[s_n], v[v_in_in]
    v_cndmask_b32 v[v_tmp+1], 0, v[v_in_flag_c], vcc
    v_cmp_gt_u32 vcc, s[s_hi], v[v_in_ihi]
    v_cndmask_b32 v[v_in_flag], 0, v[v_tmp+1], vcc
    v_cmp_gt_u32 vcc, s[s_wi], v[v_in_iwi]
    v_cndmask_b32 v[v_in_flag], 0, v[v_in_flag], vcc
    s_waitcnt lgkmcnt(0)
    v_cmpx_le_u32 vcc, 1, v[v_in_flag]
    buffer_store_dword_m v[v_c+12], v[v_in_os], s[s_p_in:s_p_in+3], s[s_tmp] offen offset:0
    s_mov_b64 exec, -1
    v_add_u32 v[v_tmp], 113, v[v_in_inb]
    .mdiv_u32_rem_vs v_tmp+2,v_in_in,v_tmp,s_magic_3,s_shift_m3,s_dim_br,v_tmp+1
    .mdiv_u32_rem_vs v_in_iwi,v_in_ihi,v_tmp+2,s_magic_2,s_shift_m2,s_dslice_w,v_tmp+1
    v_mad_u32_u24 v[v_in_ihi], v[v_in_ihi], s[s_stride_h], v[v_in_hi_sshift]
    v_mad_u32_u24 v[v_in_iwi], v[v_in_iwi], s[s_stride_w], v[v_in_wi_sshift]
    v_mad_u32_u24 v[v_tmp+1], v[v_in_ihi], s[s_wi], v[v_in_iwi]
    v_mul_lo_u32 v[v_tmp+1], s[s_in_stride_wi], v[v_tmp+1]
    v_add_u32 v[v_in_os], v[v_tmp+1], v[v_co_sub_n_index]
    v_mul_lo_u32 v[v_tmp+1], s[s_in_stride_n], v[v_in_in]
    v_add_u32 v[v_in_os], v[v_tmp+1], v[v_in_os]
    v_cmp_gt_u32 vcc, s[s_n], v[v_in_in]
    v_cndmask_b32 v[v_tmp+1], 0, v[v_in_flag_c], vcc
    v_cmp_gt_u32 vcc, s[s_hi], v[v_in_ihi]
    v_cndmask_b32 v[v_in_flag], 0, v[v_tmp+1], vcc
    v_cmp_gt_u32 vcc, s[s_wi], v[v_in_iwi]
    v_cndmask_b32 v[v_in_flag], 0, v[v_in_flag], vcc
    v_cmpx_le_u32 vcc, 1, v[v_in_flag]
    buffer_store_dword_m v[v_c+13], v[v_in_os], s[s_p_in:s_p_in+3], s[s_tmp] offen offset:0
    s_mov_b64 exec, -1
    v_add_u32 v[v_tmp], 114, v[v_in_inb]
    .mdiv_u32_rem_vs v_tmp+2,v_in_in,v_tmp,s_magic_3,s_shift_m3,s_dim_br,v_tmp+1
    .mdiv_u32_rem_vs v_in_iwi,v_in_ihi,v_tmp+2,s_magic_2,s_shift_m2,s_dslice_w,v_tmp+1
    v_mad_u32_u24 v[v_in_ihi], v[v_in_ihi], s[s_stride_h], v[v_in_hi_sshift]
    v_mad_u32_u24 v[v_in_iwi], v[v_in_iwi], s[s_stride_w], v[v_in_wi_sshift]
    v_mad_u32_u24 v[v_tmp+1], v[v_in_ihi], s[s_wi], v[v_in_iwi]
    v_mul_lo_u32 v[v_tmp+1], s[s_in_stride_wi], v[v_tmp+1]
    v_add_u32 v[v_in_os], v[v_tmp+1], v[v_co_sub_n_index]
    v_mul_lo_u32 v[v_tmp+1], s[s_in_stride_n], v[v_in_in]
    v_add_u32 v[v_in_os], v[v_tmp+1], v[v_in_os]
    v_cmp_gt_u32 vcc, s[s_n], v[v_in_in]
    v_cndmask_b32 v[v_tmp+1], 0, v[v_in_flag_c], vcc
    v_cmp_gt_u32 vcc, s[s_hi], v[v_in_ihi]
    v_cndmask_b32 v[v_in_flag], 0, v[v_tmp+1], vcc
    v_cmp_gt_u32 vcc, s[s_wi], v[v_in_iwi]
    v_cndmask_b32 v[v_in_flag], 0, v[v_in_flag], vcc
    v_cmpx_le_u32 vcc, 1, v[v_in_flag]
    buffer_store_dword_m v[v_c+14], v[v_in_os], s[s_p_in:s_p_in+3], s[s_tmp] offen offset:0
    s_mov_b64 exec, -1
    v_add_u32 v[v_tmp], 115, v[v_in_inb]
    .mdiv_u32_rem_vs v_tmp+2,v_in_in,v_tmp,s_magic_3,s_shift_m3,s_dim_br,v_tmp+1
    .mdiv_u32_rem_vs v_in_iwi,v_in_ihi,v_tmp+2,s_magic_2,s_shift_m2,s_dslice_w,v_tmp+1
    v_mad_u32_u24 v[v_in_ihi], v[v_in_ihi], s[s_stride_h], v[v_in_hi_sshift]
    v_mad_u32_u24 v[v_in_iwi], v[v_in_iwi], s[s_stride_w], v[v_in_wi_sshift]
    v_mad_u32_u24 v[v_tmp+1], v[v_in_ihi], s[s_wi], v[v_in_iwi]
    v_mul_lo_u32 v[v_tmp+1], s[s_in_stride_wi], v[v_tmp+1]
    v_add_u32 v[v_in_os], v[v_tmp+1], v[v_co_sub_n_index]
    v_mul_lo_u32 v[v_tmp+1], s[s_in_stride_n], v[v_in_in]
    v_add_u32 v[v_in_os], v[v_tmp+1], v[v_in_os]
    v_cmp_gt_u32 vcc, s[s_n], v[v_in_in]
    v_cndmask_b32 v[v_tmp+1], 0, v[v_in_flag_c], vcc
    v_cmp_gt_u32 vcc, s[s_hi], v[v_in_ihi]
    v_cndmask_b32 v[v_in_flag], 0, v[v_tmp+1], vcc
    v_cmp_gt_u32 vcc, s[s_wi], v[v_in_iwi]
    v_cndmask_b32 v[v_in_flag], 0, v[v_in_flag], vcc
    v_cmpx_le_u32 vcc, 1, v[v_in_flag]
    buffer_store_dword_m v[v_c+15], v[v_in_os], s[s_p_in:s_p_in+3], s[s_tmp] offen offset:0
    s_mov_b64 exec, -1
    ; start group 2, i_g_mr:1, i_g_ms:0, i_g_mw:0, i_g_mb:0, i_g_mt:0, m index start from 128
    s_barrier
    ds_write_b128 v[v_co_sst], v[a_c+32:a_c+32+3]    ; idword:0(0,0),  0x0 | /4, i_mr:0, i_ms:0, i_mw:0, i_mb:0  x  i_nr:0, i_ns:0, i_nw:0
    ds_write_b128 v[v_co_sst], v[a_c+36:a_c+36+3] offset:1024   ; idword:64(2,0),  2x0 | /4, i_mr:0, i_ms:0, i_mw:0, i_mb:1  x  i_nr:0, i_ns:0, i_nw:0
    ds_write_b128 v[v_co_sst], v[a_c+40:a_c+40+3] offset:2048   ; idword:128(4,0),  4x0 | /4, i_mr:0, i_ms:0, i_mw:0, i_mb:2  x  i_nr:0, i_ns:0, i_nw:0
    ds_write_b128 v[v_co_sst], v[a_c+44:a_c+44+3] offset:3072   ; idword:192(6,0),  6x0 | /4, i_mr:0, i_ms:0, i_mw:0, i_mb:3  x  i_nr:0, i_ns:0, i_nw:0
    v_add_u32 v[v_tmp], 128, v[v_in_inb]
    .mdiv_u32_rem_vs v_tmp+2,v_in_in,v_tmp,s_magic_3,s_shift_m3,s_dim_br,v_tmp+1
    .mdiv_u32_rem_vs v_in_iwi,v_in_ihi,v_tmp+2,s_magic_2,s_shift_m2,s_dslice_w,v_tmp+1
    v_mad_u32_u24 v[v_in_ihi], v[v_in_ihi], s[s_stride_h], v[v_in_hi_sshift]
    v_mad_u32_u24 v[v_in_iwi], v[v_in_iwi], s[s_stride_w], v[v_in_wi_sshift]
    v_mad_u32_u24 v[v_tmp+1], v[v_in_ihi], s[s_wi], v[v_in_iwi]
    v_mul_lo_u32 v[v_tmp+1], s[s_in_stride_wi], v[v_tmp+1]
    v_add_u32 v[v_in_os], v[v_tmp+1], v[v_co_sub_n_index]
    v_mul_lo_u32 v[v_tmp+1], s[s_in_stride_n], v[v_in_in]
    v_add_u32 v[v_in_os], v[v_tmp+1], v[v_in_os]
    v_cmp_gt_u32 vcc, s[s_n], v[v_in_in]
    v_cndmask_b32 v[v_tmp+1], 0, v[v_in_flag_c], vcc
    v_cmp_gt_u32 vcc, s[s_hi], v[v_in_ihi]
    v_cndmask_b32 v[v_in_flag], 0, v[v_tmp+1], vcc
    v_cmp_gt_u32 vcc, s[s_wi], v[v_in_iwi]
    v_cndmask_b32 v[v_in_flag], 0, v[v_in_flag], vcc
    s_waitcnt lgkmcnt(0)
    s_barrier
    ;   load from lds, i_ssgroup:0, num_sld_per_ssgroup:4
    ds_read_b128 v[v_c:v_c+3], v[v_co_sld] offset:0
    ds_read_b128 v[v_c+4:v_c+4+3], v[v_co_sld] offset:2048
    ds_read_b128 v[v_c+8:v_c+8+3], v[v_co_sld] offset:4096
	;; [unrolled: 1-line block ×3, first 2 shown]
    ;   store to global, m index start from 128, m0:4, m1:0
    s_waitcnt lgkmcnt(3)
    v_cmpx_le_u32 vcc, 1, v[v_in_flag]
    buffer_store_dword_m v[v_c], v[v_in_os], s[s_p_in:s_p_in+3], s[s_tmp] offen offset:0
    s_mov_b64 exec, -1
    v_add_u32 v[v_tmp], 129, v[v_in_inb]
    .mdiv_u32_rem_vs v_tmp+2,v_in_in,v_tmp,s_magic_3,s_shift_m3,s_dim_br,v_tmp+1
    .mdiv_u32_rem_vs v_in_iwi,v_in_ihi,v_tmp+2,s_magic_2,s_shift_m2,s_dslice_w,v_tmp+1
    v_mad_u32_u24 v[v_in_ihi], v[v_in_ihi], s[s_stride_h], v[v_in_hi_sshift]
    v_mad_u32_u24 v[v_in_iwi], v[v_in_iwi], s[s_stride_w], v[v_in_wi_sshift]
    v_mad_u32_u24 v[v_tmp+1], v[v_in_ihi], s[s_wi], v[v_in_iwi]
    v_mul_lo_u32 v[v_tmp+1], s[s_in_stride_wi], v[v_tmp+1]
    v_add_u32 v[v_in_os], v[v_tmp+1], v[v_co_sub_n_index]
    v_mul_lo_u32 v[v_tmp+1], s[s_in_stride_n], v[v_in_in]
    v_add_u32 v[v_in_os], v[v_tmp+1], v[v_in_os]
    v_cmp_gt_u32 vcc, s[s_n], v[v_in_in]
    v_cndmask_b32 v[v_tmp+1], 0, v[v_in_flag_c], vcc
    v_cmp_gt_u32 vcc, s[s_hi], v[v_in_ihi]
    v_cndmask_b32 v[v_in_flag], 0, v[v_tmp+1], vcc
    v_cmp_gt_u32 vcc, s[s_wi], v[v_in_iwi]
    v_cndmask_b32 v[v_in_flag], 0, v[v_in_flag], vcc
    v_cmpx_le_u32 vcc, 1, v[v_in_flag]
    buffer_store_dword_m v[v_c+1], v[v_in_os], s[s_p_in:s_p_in+3], s[s_tmp] offen offset:0
    s_mov_b64 exec, -1
    v_add_u32 v[v_tmp], 130, v[v_in_inb]
    .mdiv_u32_rem_vs v_tmp+2,v_in_in,v_tmp,s_magic_3,s_shift_m3,s_dim_br,v_tmp+1
    .mdiv_u32_rem_vs v_in_iwi,v_in_ihi,v_tmp+2,s_magic_2,s_shift_m2,s_dslice_w,v_tmp+1
    v_mad_u32_u24 v[v_in_ihi], v[v_in_ihi], s[s_stride_h], v[v_in_hi_sshift]
    v_mad_u32_u24 v[v_in_iwi], v[v_in_iwi], s[s_stride_w], v[v_in_wi_sshift]
    v_mad_u32_u24 v[v_tmp+1], v[v_in_ihi], s[s_wi], v[v_in_iwi]
    v_mul_lo_u32 v[v_tmp+1], s[s_in_stride_wi], v[v_tmp+1]
    v_add_u32 v[v_in_os], v[v_tmp+1], v[v_co_sub_n_index]
    v_mul_lo_u32 v[v_tmp+1], s[s_in_stride_n], v[v_in_in]
    v_add_u32 v[v_in_os], v[v_tmp+1], v[v_in_os]
    v_cmp_gt_u32 vcc, s[s_n], v[v_in_in]
    v_cndmask_b32 v[v_tmp+1], 0, v[v_in_flag_c], vcc
    v_cmp_gt_u32 vcc, s[s_hi], v[v_in_ihi]
    v_cndmask_b32 v[v_in_flag], 0, v[v_tmp+1], vcc
    v_cmp_gt_u32 vcc, s[s_wi], v[v_in_iwi]
    v_cndmask_b32 v[v_in_flag], 0, v[v_in_flag], vcc
    v_cmpx_le_u32 vcc, 1, v[v_in_flag]
    buffer_store_dword_m v[v_c+2], v[v_in_os], s[s_p_in:s_p_in+3], s[s_tmp] offen offset:0
    s_mov_b64 exec, -1
    v_add_u32 v[v_tmp], 131, v[v_in_inb]
    .mdiv_u32_rem_vs v_tmp+2,v_in_in,v_tmp,s_magic_3,s_shift_m3,s_dim_br,v_tmp+1
    .mdiv_u32_rem_vs v_in_iwi,v_in_ihi,v_tmp+2,s_magic_2,s_shift_m2,s_dslice_w,v_tmp+1
    v_mad_u32_u24 v[v_in_ihi], v[v_in_ihi], s[s_stride_h], v[v_in_hi_sshift]
    v_mad_u32_u24 v[v_in_iwi], v[v_in_iwi], s[s_stride_w], v[v_in_wi_sshift]
    v_mad_u32_u24 v[v_tmp+1], v[v_in_ihi], s[s_wi], v[v_in_iwi]
    v_mul_lo_u32 v[v_tmp+1], s[s_in_stride_wi], v[v_tmp+1]
    v_add_u32 v[v_in_os], v[v_tmp+1], v[v_co_sub_n_index]
    v_mul_lo_u32 v[v_tmp+1], s[s_in_stride_n], v[v_in_in]
    v_add_u32 v[v_in_os], v[v_tmp+1], v[v_in_os]
    v_cmp_gt_u32 vcc, s[s_n], v[v_in_in]
    v_cndmask_b32 v[v_tmp+1], 0, v[v_in_flag_c], vcc
    v_cmp_gt_u32 vcc, s[s_hi], v[v_in_ihi]
    v_cndmask_b32 v[v_in_flag], 0, v[v_tmp+1], vcc
    v_cmp_gt_u32 vcc, s[s_wi], v[v_in_iwi]
    v_cndmask_b32 v[v_in_flag], 0, v[v_in_flag], vcc
    v_cmpx_le_u32 vcc, 1, v[v_in_flag]
    buffer_store_dword_m v[v_c+3], v[v_in_os], s[s_p_in:s_p_in+3], s[s_tmp] offen offset:0
    s_mov_b64 exec, -1
    v_add_u32 v[v_tmp], 144, v[v_in_inb]
    .mdiv_u32_rem_vs v_tmp+2,v_in_in,v_tmp,s_magic_3,s_shift_m3,s_dim_br,v_tmp+1
    .mdiv_u32_rem_vs v_in_iwi,v_in_ihi,v_tmp+2,s_magic_2,s_shift_m2,s_dslice_w,v_tmp+1
    v_mad_u32_u24 v[v_in_ihi], v[v_in_ihi], s[s_stride_h], v[v_in_hi_sshift]
    v_mad_u32_u24 v[v_in_iwi], v[v_in_iwi], s[s_stride_w], v[v_in_wi_sshift]
    v_mad_u32_u24 v[v_tmp+1], v[v_in_ihi], s[s_wi], v[v_in_iwi]
    v_mul_lo_u32 v[v_tmp+1], s[s_in_stride_wi], v[v_tmp+1]
    v_add_u32 v[v_in_os], v[v_tmp+1], v[v_co_sub_n_index]
    v_mul_lo_u32 v[v_tmp+1], s[s_in_stride_n], v[v_in_in]
    v_add_u32 v[v_in_os], v[v_tmp+1], v[v_in_os]
    v_cmp_gt_u32 vcc, s[s_n], v[v_in_in]
    v_cndmask_b32 v[v_tmp+1], 0, v[v_in_flag_c], vcc
    v_cmp_gt_u32 vcc, s[s_hi], v[v_in_ihi]
    v_cndmask_b32 v[v_in_flag], 0, v[v_tmp+1], vcc
    v_cmp_gt_u32 vcc, s[s_wi], v[v_in_iwi]
    v_cndmask_b32 v[v_in_flag], 0, v[v_in_flag], vcc
    s_waitcnt lgkmcnt(2)
    v_cmpx_le_u32 vcc, 1, v[v_in_flag]
    buffer_store_dword_m v[v_c+4], v[v_in_os], s[s_p_in:s_p_in+3], s[s_tmp] offen offset:0
    s_mov_b64 exec, -1
    v_add_u32 v[v_tmp], 145, v[v_in_inb]
    .mdiv_u32_rem_vs v_tmp+2,v_in_in,v_tmp,s_magic_3,s_shift_m3,s_dim_br,v_tmp+1
    .mdiv_u32_rem_vs v_in_iwi,v_in_ihi,v_tmp+2,s_magic_2,s_shift_m2,s_dslice_w,v_tmp+1
    v_mad_u32_u24 v[v_in_ihi], v[v_in_ihi], s[s_stride_h], v[v_in_hi_sshift]
    v_mad_u32_u24 v[v_in_iwi], v[v_in_iwi], s[s_stride_w], v[v_in_wi_sshift]
    v_mad_u32_u24 v[v_tmp+1], v[v_in_ihi], s[s_wi], v[v_in_iwi]
    v_mul_lo_u32 v[v_tmp+1], s[s_in_stride_wi], v[v_tmp+1]
    v_add_u32 v[v_in_os], v[v_tmp+1], v[v_co_sub_n_index]
    v_mul_lo_u32 v[v_tmp+1], s[s_in_stride_n], v[v_in_in]
    v_add_u32 v[v_in_os], v[v_tmp+1], v[v_in_os]
    v_cmp_gt_u32 vcc, s[s_n], v[v_in_in]
    v_cndmask_b32 v[v_tmp+1], 0, v[v_in_flag_c], vcc
    v_cmp_gt_u32 vcc, s[s_hi], v[v_in_ihi]
    v_cndmask_b32 v[v_in_flag], 0, v[v_tmp+1], vcc
    v_cmp_gt_u32 vcc, s[s_wi], v[v_in_iwi]
    v_cndmask_b32 v[v_in_flag], 0, v[v_in_flag], vcc
    v_cmpx_le_u32 vcc, 1, v[v_in_flag]
    buffer_store_dword_m v[v_c+5], v[v_in_os], s[s_p_in:s_p_in+3], s[s_tmp] offen offset:0
    s_mov_b64 exec, -1
    v_add_u32 v[v_tmp], 146, v[v_in_inb]
    .mdiv_u32_rem_vs v_tmp+2,v_in_in,v_tmp,s_magic_3,s_shift_m3,s_dim_br,v_tmp+1
    .mdiv_u32_rem_vs v_in_iwi,v_in_ihi,v_tmp+2,s_magic_2,s_shift_m2,s_dslice_w,v_tmp+1
    v_mad_u32_u24 v[v_in_ihi], v[v_in_ihi], s[s_stride_h], v[v_in_hi_sshift]
    v_mad_u32_u24 v[v_in_iwi], v[v_in_iwi], s[s_stride_w], v[v_in_wi_sshift]
    v_mad_u32_u24 v[v_tmp+1], v[v_in_ihi], s[s_wi], v[v_in_iwi]
    v_mul_lo_u32 v[v_tmp+1], s[s_in_stride_wi], v[v_tmp+1]
    v_add_u32 v[v_in_os], v[v_tmp+1], v[v_co_sub_n_index]
    v_mul_lo_u32 v[v_tmp+1], s[s_in_stride_n], v[v_in_in]
    v_add_u32 v[v_in_os], v[v_tmp+1], v[v_in_os]
    v_cmp_gt_u32 vcc, s[s_n], v[v_in_in]
    v_cndmask_b32 v[v_tmp+1], 0, v[v_in_flag_c], vcc
    v_cmp_gt_u32 vcc, s[s_hi], v[v_in_ihi]
    v_cndmask_b32 v[v_in_flag], 0, v[v_tmp+1], vcc
    v_cmp_gt_u32 vcc, s[s_wi], v[v_in_iwi]
    v_cndmask_b32 v[v_in_flag], 0, v[v_in_flag], vcc
    v_cmpx_le_u32 vcc, 1, v[v_in_flag]
    buffer_store_dword_m v[v_c+6], v[v_in_os], s[s_p_in:s_p_in+3], s[s_tmp] offen offset:0
    s_mov_b64 exec, -1
    v_add_u32 v[v_tmp], 147, v[v_in_inb]
    .mdiv_u32_rem_vs v_tmp+2,v_in_in,v_tmp,s_magic_3,s_shift_m3,s_dim_br,v_tmp+1
    .mdiv_u32_rem_vs v_in_iwi,v_in_ihi,v_tmp+2,s_magic_2,s_shift_m2,s_dslice_w,v_tmp+1
    v_mad_u32_u24 v[v_in_ihi], v[v_in_ihi], s[s_stride_h], v[v_in_hi_sshift]
    v_mad_u32_u24 v[v_in_iwi], v[v_in_iwi], s[s_stride_w], v[v_in_wi_sshift]
    v_mad_u32_u24 v[v_tmp+1], v[v_in_ihi], s[s_wi], v[v_in_iwi]
    v_mul_lo_u32 v[v_tmp+1], s[s_in_stride_wi], v[v_tmp+1]
    v_add_u32 v[v_in_os], v[v_tmp+1], v[v_co_sub_n_index]
    v_mul_lo_u32 v[v_tmp+1], s[s_in_stride_n], v[v_in_in]
    v_add_u32 v[v_in_os], v[v_tmp+1], v[v_in_os]
    v_cmp_gt_u32 vcc, s[s_n], v[v_in_in]
    v_cndmask_b32 v[v_tmp+1], 0, v[v_in_flag_c], vcc
    v_cmp_gt_u32 vcc, s[s_hi], v[v_in_ihi]
    v_cndmask_b32 v[v_in_flag], 0, v[v_tmp+1], vcc
    v_cmp_gt_u32 vcc, s[s_wi], v[v_in_iwi]
    v_cndmask_b32 v[v_in_flag], 0, v[v_in_flag], vcc
    v_cmpx_le_u32 vcc, 1, v[v_in_flag]
    buffer_store_dword_m v[v_c+7], v[v_in_os], s[s_p_in:s_p_in+3], s[s_tmp] offen offset:0
    s_mov_b64 exec, -1
    v_add_u32 v[v_tmp], 192, v[v_in_inb]
    .mdiv_u32_rem_vs v_tmp+2,v_in_in,v_tmp,s_magic_3,s_shift_m3,s_dim_br,v_tmp+1
    .mdiv_u32_rem_vs v_in_iwi,v_in_ihi,v_tmp+2,s_magic_2,s_shift_m2,s_dslice_w,v_tmp+1
    v_mad_u32_u24 v[v_in_ihi], v[v_in_ihi], s[s_stride_h], v[v_in_hi_sshift]
    v_mad_u32_u24 v[v_in_iwi], v[v_in_iwi], s[s_stride_w], v[v_in_wi_sshift]
    v_mad_u32_u24 v[v_tmp+1], v[v_in_ihi], s[s_wi], v[v_in_iwi]
    v_mul_lo_u32 v[v_tmp+1], s[s_in_stride_wi], v[v_tmp+1]
    v_add_u32 v[v_in_os], v[v_tmp+1], v[v_co_sub_n_index]
    v_mul_lo_u32 v[v_tmp+1], s[s_in_stride_n], v[v_in_in]
    v_add_u32 v[v_in_os], v[v_tmp+1], v[v_in_os]
    v_cmp_gt_u32 vcc, s[s_n], v[v_in_in]
    v_cndmask_b32 v[v_tmp+1], 0, v[v_in_flag_c], vcc
    v_cmp_gt_u32 vcc, s[s_hi], v[v_in_ihi]
    v_cndmask_b32 v[v_in_flag], 0, v[v_tmp+1], vcc
    v_cmp_gt_u32 vcc, s[s_wi], v[v_in_iwi]
    v_cndmask_b32 v[v_in_flag], 0, v[v_in_flag], vcc
    s_waitcnt lgkmcnt(1)
    v_cmpx_le_u32 vcc, 1, v[v_in_flag]
    buffer_store_dword_m v[v_c+8], v[v_in_os], s[s_p_in:s_p_in+3], s[s_tmp] offen offset:0
    s_mov_b64 exec, -1
    v_add_u32 v[v_tmp], 193, v[v_in_inb]
    .mdiv_u32_rem_vs v_tmp+2,v_in_in,v_tmp,s_magic_3,s_shift_m3,s_dim_br,v_tmp+1
    .mdiv_u32_rem_vs v_in_iwi,v_in_ihi,v_tmp+2,s_magic_2,s_shift_m2,s_dslice_w,v_tmp+1
    v_mad_u32_u24 v[v_in_ihi], v[v_in_ihi], s[s_stride_h], v[v_in_hi_sshift]
    v_mad_u32_u24 v[v_in_iwi], v[v_in_iwi], s[s_stride_w], v[v_in_wi_sshift]
    v_mad_u32_u24 v[v_tmp+1], v[v_in_ihi], s[s_wi], v[v_in_iwi]
    v_mul_lo_u32 v[v_tmp+1], s[s_in_stride_wi], v[v_tmp+1]
    v_add_u32 v[v_in_os], v[v_tmp+1], v[v_co_sub_n_index]
    v_mul_lo_u32 v[v_tmp+1], s[s_in_stride_n], v[v_in_in]
    v_add_u32 v[v_in_os], v[v_tmp+1], v[v_in_os]
    v_cmp_gt_u32 vcc, s[s_n], v[v_in_in]
    v_cndmask_b32 v[v_tmp+1], 0, v[v_in_flag_c], vcc
    v_cmp_gt_u32 vcc, s[s_hi], v[v_in_ihi]
    v_cndmask_b32 v[v_in_flag], 0, v[v_tmp+1], vcc
    v_cmp_gt_u32 vcc, s[s_wi], v[v_in_iwi]
    v_cndmask_b32 v[v_in_flag], 0, v[v_in_flag], vcc
    v_cmpx_le_u32 vcc, 1, v[v_in_flag]
    buffer_store_dword_m v[v_c+9], v[v_in_os], s[s_p_in:s_p_in+3], s[s_tmp] offen offset:0
    s_mov_b64 exec, -1
    v_add_u32 v[v_tmp], 194, v[v_in_inb]
    .mdiv_u32_rem_vs v_tmp+2,v_in_in,v_tmp,s_magic_3,s_shift_m3,s_dim_br,v_tmp+1
    .mdiv_u32_rem_vs v_in_iwi,v_in_ihi,v_tmp+2,s_magic_2,s_shift_m2,s_dslice_w,v_tmp+1
    v_mad_u32_u24 v[v_in_ihi], v[v_in_ihi], s[s_stride_h], v[v_in_hi_sshift]
    v_mad_u32_u24 v[v_in_iwi], v[v_in_iwi], s[s_stride_w], v[v_in_wi_sshift]
    v_mad_u32_u24 v[v_tmp+1], v[v_in_ihi], s[s_wi], v[v_in_iwi]
    v_mul_lo_u32 v[v_tmp+1], s[s_in_stride_wi], v[v_tmp+1]
    v_add_u32 v[v_in_os], v[v_tmp+1], v[v_co_sub_n_index]
    v_mul_lo_u32 v[v_tmp+1], s[s_in_stride_n], v[v_in_in]
    v_add_u32 v[v_in_os], v[v_tmp+1], v[v_in_os]
    v_cmp_gt_u32 vcc, s[s_n], v[v_in_in]
    v_cndmask_b32 v[v_tmp+1], 0, v[v_in_flag_c], vcc
    v_cmp_gt_u32 vcc, s[s_hi], v[v_in_ihi]
    v_cndmask_b32 v[v_in_flag], 0, v[v_tmp+1], vcc
    v_cmp_gt_u32 vcc, s[s_wi], v[v_in_iwi]
    v_cndmask_b32 v[v_in_flag], 0, v[v_in_flag], vcc
    v_cmpx_le_u32 vcc, 1, v[v_in_flag]
    buffer_store_dword_m v[v_c+10], v[v_in_os], s[s_p_in:s_p_in+3], s[s_tmp] offen offset:0
    s_mov_b64 exec, -1
    v_add_u32 v[v_tmp], 195, v[v_in_inb]
    .mdiv_u32_rem_vs v_tmp+2,v_in_in,v_tmp,s_magic_3,s_shift_m3,s_dim_br,v_tmp+1
    .mdiv_u32_rem_vs v_in_iwi,v_in_ihi,v_tmp+2,s_magic_2,s_shift_m2,s_dslice_w,v_tmp+1
    v_mad_u32_u24 v[v_in_ihi], v[v_in_ihi], s[s_stride_h], v[v_in_hi_sshift]
    v_mad_u32_u24 v[v_in_iwi], v[v_in_iwi], s[s_stride_w], v[v_in_wi_sshift]
    v_mad_u32_u24 v[v_tmp+1], v[v_in_ihi], s[s_wi], v[v_in_iwi]
    v_mul_lo_u32 v[v_tmp+1], s[s_in_stride_wi], v[v_tmp+1]
    v_add_u32 v[v_in_os], v[v_tmp+1], v[v_co_sub_n_index]
    v_mul_lo_u32 v[v_tmp+1], s[s_in_stride_n], v[v_in_in]
    v_add_u32 v[v_in_os], v[v_tmp+1], v[v_in_os]
    v_cmp_gt_u32 vcc, s[s_n], v[v_in_in]
    v_cndmask_b32 v[v_tmp+1], 0, v[v_in_flag_c], vcc
    v_cmp_gt_u32 vcc, s[s_hi], v[v_in_ihi]
    v_cndmask_b32 v[v_in_flag], 0, v[v_tmp+1], vcc
    v_cmp_gt_u32 vcc, s[s_wi], v[v_in_iwi]
    v_cndmask_b32 v[v_in_flag], 0, v[v_in_flag], vcc
    v_cmpx_le_u32 vcc, 1, v[v_in_flag]
    buffer_store_dword_m v[v_c+11], v[v_in_os], s[s_p_in:s_p_in+3], s[s_tmp] offen offset:0
    s_mov_b64 exec, -1
    v_add_u32 v[v_tmp], 208, v[v_in_inb]
    .mdiv_u32_rem_vs v_tmp+2,v_in_in,v_tmp,s_magic_3,s_shift_m3,s_dim_br,v_tmp+1
    .mdiv_u32_rem_vs v_in_iwi,v_in_ihi,v_tmp+2,s_magic_2,s_shift_m2,s_dslice_w,v_tmp+1
    v_mad_u32_u24 v[v_in_ihi], v[v_in_ihi], s[s_stride_h], v[v_in_hi_sshift]
    v_mad_u32_u24 v[v_in_iwi], v[v_in_iwi], s[s_stride_w], v[v_in_wi_sshift]
    v_mad_u32_u24 v[v_tmp+1], v[v_in_ihi], s[s_wi], v[v_in_iwi]
    v_mul_lo_u32 v[v_tmp+1], s[s_in_stride_wi], v[v_tmp+1]
    v_add_u32 v[v_in_os], v[v_tmp+1], v[v_co_sub_n_index]
    v_mul_lo_u32 v[v_tmp+1], s[s_in_stride_n], v[v_in_in]
    v_add_u32 v[v_in_os], v[v_tmp+1], v[v_in_os]
    v_cmp_gt_u32 vcc, s[s_n], v[v_in_in]
    v_cndmask_b32 v[v_tmp+1], 0, v[v_in_flag_c], vcc
    v_cmp_gt_u32 vcc, s[s_hi], v[v_in_ihi]
    v_cndmask_b32 v[v_in_flag], 0, v[v_tmp+1], vcc
    v_cmp_gt_u32 vcc, s[s_wi], v[v_in_iwi]
    v_cndmask_b32 v[v_in_flag], 0, v[v_in_flag], vcc
    s_waitcnt lgkmcnt(0)
    v_cmpx_le_u32 vcc, 1, v[v_in_flag]
    buffer_store_dword_m v[v_c+12], v[v_in_os], s[s_p_in:s_p_in+3], s[s_tmp] offen offset:0
    s_mov_b64 exec, -1
    v_add_u32 v[v_tmp], 209, v[v_in_inb]
    .mdiv_u32_rem_vs v_tmp+2,v_in_in,v_tmp,s_magic_3,s_shift_m3,s_dim_br,v_tmp+1
    .mdiv_u32_rem_vs v_in_iwi,v_in_ihi,v_tmp+2,s_magic_2,s_shift_m2,s_dslice_w,v_tmp+1
    v_mad_u32_u24 v[v_in_ihi], v[v_in_ihi], s[s_stride_h], v[v_in_hi_sshift]
    v_mad_u32_u24 v[v_in_iwi], v[v_in_iwi], s[s_stride_w], v[v_in_wi_sshift]
    v_mad_u32_u24 v[v_tmp+1], v[v_in_ihi], s[s_wi], v[v_in_iwi]
    v_mul_lo_u32 v[v_tmp+1], s[s_in_stride_wi], v[v_tmp+1]
    v_add_u32 v[v_in_os], v[v_tmp+1], v[v_co_sub_n_index]
    v_mul_lo_u32 v[v_tmp+1], s[s_in_stride_n], v[v_in_in]
    v_add_u32 v[v_in_os], v[v_tmp+1], v[v_in_os]
    v_cmp_gt_u32 vcc, s[s_n], v[v_in_in]
    v_cndmask_b32 v[v_tmp+1], 0, v[v_in_flag_c], vcc
    v_cmp_gt_u32 vcc, s[s_hi], v[v_in_ihi]
    v_cndmask_b32 v[v_in_flag], 0, v[v_tmp+1], vcc
    v_cmp_gt_u32 vcc, s[s_wi], v[v_in_iwi]
    v_cndmask_b32 v[v_in_flag], 0, v[v_in_flag], vcc
    v_cmpx_le_u32 vcc, 1, v[v_in_flag]
    buffer_store_dword_m v[v_c+13], v[v_in_os], s[s_p_in:s_p_in+3], s[s_tmp] offen offset:0
    s_mov_b64 exec, -1
    v_add_u32 v[v_tmp], 210, v[v_in_inb]
    .mdiv_u32_rem_vs v_tmp+2,v_in_in,v_tmp,s_magic_3,s_shift_m3,s_dim_br,v_tmp+1
    .mdiv_u32_rem_vs v_in_iwi,v_in_ihi,v_tmp+2,s_magic_2,s_shift_m2,s_dslice_w,v_tmp+1
    v_mad_u32_u24 v[v_in_ihi], v[v_in_ihi], s[s_stride_h], v[v_in_hi_sshift]
    v_mad_u32_u24 v[v_in_iwi], v[v_in_iwi], s[s_stride_w], v[v_in_wi_sshift]
    v_mad_u32_u24 v[v_tmp+1], v[v_in_ihi], s[s_wi], v[v_in_iwi]
    v_mul_lo_u32 v[v_tmp+1], s[s_in_stride_wi], v[v_tmp+1]
    v_add_u32 v[v_in_os], v[v_tmp+1], v[v_co_sub_n_index]
    v_mul_lo_u32 v[v_tmp+1], s[s_in_stride_n], v[v_in_in]
    v_add_u32 v[v_in_os], v[v_tmp+1], v[v_in_os]
    v_cmp_gt_u32 vcc, s[s_n], v[v_in_in]
    v_cndmask_b32 v[v_tmp+1], 0, v[v_in_flag_c], vcc
    v_cmp_gt_u32 vcc, s[s_hi], v[v_in_ihi]
    v_cndmask_b32 v[v_in_flag], 0, v[v_tmp+1], vcc
    v_cmp_gt_u32 vcc, s[s_wi], v[v_in_iwi]
    v_cndmask_b32 v[v_in_flag], 0, v[v_in_flag], vcc
    v_cmpx_le_u32 vcc, 1, v[v_in_flag]
    buffer_store_dword_m v[v_c+14], v[v_in_os], s[s_p_in:s_p_in+3], s[s_tmp] offen offset:0
    s_mov_b64 exec, -1
    v_add_u32 v[v_tmp], 211, v[v_in_inb]
    .mdiv_u32_rem_vs v_tmp+2,v_in_in,v_tmp,s_magic_3,s_shift_m3,s_dim_br,v_tmp+1
    .mdiv_u32_rem_vs v_in_iwi,v_in_ihi,v_tmp+2,s_magic_2,s_shift_m2,s_dslice_w,v_tmp+1
    v_mad_u32_u24 v[v_in_ihi], v[v_in_ihi], s[s_stride_h], v[v_in_hi_sshift]
    v_mad_u32_u24 v[v_in_iwi], v[v_in_iwi], s[s_stride_w], v[v_in_wi_sshift]
    v_mad_u32_u24 v[v_tmp+1], v[v_in_ihi], s[s_wi], v[v_in_iwi]
    v_mul_lo_u32 v[v_tmp+1], s[s_in_stride_wi], v[v_tmp+1]
    v_add_u32 v[v_in_os], v[v_tmp+1], v[v_co_sub_n_index]
    v_mul_lo_u32 v[v_tmp+1], s[s_in_stride_n], v[v_in_in]
    v_add_u32 v[v_in_os], v[v_tmp+1], v[v_in_os]
    v_cmp_gt_u32 vcc, s[s_n], v[v_in_in]
    v_cndmask_b32 v[v_tmp+1], 0, v[v_in_flag_c], vcc
    v_cmp_gt_u32 vcc, s[s_hi], v[v_in_ihi]
    v_cndmask_b32 v[v_in_flag], 0, v[v_tmp+1], vcc
    v_cmp_gt_u32 vcc, s[s_wi], v[v_in_iwi]
    v_cndmask_b32 v[v_in_flag], 0, v[v_in_flag], vcc
    v_cmpx_le_u32 vcc, 1, v[v_in_flag]
    buffer_store_dword_m v[v_c+15], v[v_in_os], s[s_p_in:s_p_in+3], s[s_tmp] offen offset:0
    s_mov_b64 exec, -1
    ; start group 3, i_g_mr:1, i_g_ms:0, i_g_mw:1, i_g_mb:0, i_g_mt:0, m index start from 160
    s_barrier
    ds_write_b128 v[v_co_sst], v[a_c+48:a_c+48+3]    ; idword:0(0,0),  0x0 | /4, i_mr:0, i_ms:0, i_mw:0, i_mb:0  x  i_nr:0, i_ns:0, i_nw:0
    ds_write_b128 v[v_co_sst], v[a_c+52:a_c+52+3] offset:1024   ; idword:64(2,0),  2x0 | /4, i_mr:0, i_ms:0, i_mw:0, i_mb:1  x  i_nr:0, i_ns:0, i_nw:0
    ds_write_b128 v[v_co_sst], v[a_c+56:a_c+56+3] offset:2048   ; idword:128(4,0),  4x0 | /4, i_mr:0, i_ms:0, i_mw:0, i_mb:2  x  i_nr:0, i_ns:0, i_nw:0
    ds_write_b128 v[v_co_sst], v[a_c+60:a_c+60+3] offset:3072   ; idword:192(6,0),  6x0 | /4, i_mr:0, i_ms:0, i_mw:0, i_mb:3  x  i_nr:0, i_ns:0, i_nw:0
    v_add_u32 v[v_tmp], 160, v[v_in_inb]
    .mdiv_u32_rem_vs v_tmp+2,v_in_in,v_tmp,s_magic_3,s_shift_m3,s_dim_br,v_tmp+1
    .mdiv_u32_rem_vs v_in_iwi,v_in_ihi,v_tmp+2,s_magic_2,s_shift_m2,s_dslice_w,v_tmp+1
    v_mad_u32_u24 v[v_in_ihi], v[v_in_ihi], s[s_stride_h], v[v_in_hi_sshift]
    v_mad_u32_u24 v[v_in_iwi], v[v_in_iwi], s[s_stride_w], v[v_in_wi_sshift]
    v_mad_u32_u24 v[v_tmp+1], v[v_in_ihi], s[s_wi], v[v_in_iwi]
    v_mul_lo_u32 v[v_tmp+1], s[s_in_stride_wi], v[v_tmp+1]
    v_add_u32 v[v_in_os], v[v_tmp+1], v[v_co_sub_n_index]
    v_mul_lo_u32 v[v_tmp+1], s[s_in_stride_n], v[v_in_in]
    v_add_u32 v[v_in_os], v[v_tmp+1], v[v_in_os]
    v_cmp_gt_u32 vcc, s[s_n], v[v_in_in]
    v_cndmask_b32 v[v_tmp+1], 0, v[v_in_flag_c], vcc
    v_cmp_gt_u32 vcc, s[s_hi], v[v_in_ihi]
    v_cndmask_b32 v[v_in_flag], 0, v[v_tmp+1], vcc
    v_cmp_gt_u32 vcc, s[s_wi], v[v_in_iwi]
    v_cndmask_b32 v[v_in_flag], 0, v[v_in_flag], vcc
    s_waitcnt lgkmcnt(0)
    s_barrier
    ;   load from lds, i_ssgroup:0, num_sld_per_ssgroup:4
    ds_read_b128 v[v_c:v_c+3], v[v_co_sld] offset:0
    ds_read_b128 v[v_c+4:v_c+4+3], v[v_co_sld] offset:2048
    ds_read_b128 v[v_c+8:v_c+8+3], v[v_co_sld] offset:4096
	;; [unrolled: 1-line block ×3, first 2 shown]
    ;   store to global, m index start from 160, m0:5, m1:0
    s_waitcnt lgkmcnt(3)
    v_cmpx_le_u32 vcc, 1, v[v_in_flag]
    buffer_store_dword_m v[v_c], v[v_in_os], s[s_p_in:s_p_in+3], s[s_tmp] offen offset:0
    s_mov_b64 exec, -1
    v_add_u32 v[v_tmp], 161, v[v_in_inb]
    .mdiv_u32_rem_vs v_tmp+2,v_in_in,v_tmp,s_magic_3,s_shift_m3,s_dim_br,v_tmp+1
    .mdiv_u32_rem_vs v_in_iwi,v_in_ihi,v_tmp+2,s_magic_2,s_shift_m2,s_dslice_w,v_tmp+1
    v_mad_u32_u24 v[v_in_ihi], v[v_in_ihi], s[s_stride_h], v[v_in_hi_sshift]
    v_mad_u32_u24 v[v_in_iwi], v[v_in_iwi], s[s_stride_w], v[v_in_wi_sshift]
    v_mad_u32_u24 v[v_tmp+1], v[v_in_ihi], s[s_wi], v[v_in_iwi]
    v_mul_lo_u32 v[v_tmp+1], s[s_in_stride_wi], v[v_tmp+1]
    v_add_u32 v[v_in_os], v[v_tmp+1], v[v_co_sub_n_index]
    v_mul_lo_u32 v[v_tmp+1], s[s_in_stride_n], v[v_in_in]
    v_add_u32 v[v_in_os], v[v_tmp+1], v[v_in_os]
    v_cmp_gt_u32 vcc, s[s_n], v[v_in_in]
    v_cndmask_b32 v[v_tmp+1], 0, v[v_in_flag_c], vcc
    v_cmp_gt_u32 vcc, s[s_hi], v[v_in_ihi]
    v_cndmask_b32 v[v_in_flag], 0, v[v_tmp+1], vcc
    v_cmp_gt_u32 vcc, s[s_wi], v[v_in_iwi]
    v_cndmask_b32 v[v_in_flag], 0, v[v_in_flag], vcc
    v_cmpx_le_u32 vcc, 1, v[v_in_flag]
    buffer_store_dword_m v[v_c+1], v[v_in_os], s[s_p_in:s_p_in+3], s[s_tmp] offen offset:0
    s_mov_b64 exec, -1
    v_add_u32 v[v_tmp], 162, v[v_in_inb]
    .mdiv_u32_rem_vs v_tmp+2,v_in_in,v_tmp,s_magic_3,s_shift_m3,s_dim_br,v_tmp+1
    .mdiv_u32_rem_vs v_in_iwi,v_in_ihi,v_tmp+2,s_magic_2,s_shift_m2,s_dslice_w,v_tmp+1
    v_mad_u32_u24 v[v_in_ihi], v[v_in_ihi], s[s_stride_h], v[v_in_hi_sshift]
    v_mad_u32_u24 v[v_in_iwi], v[v_in_iwi], s[s_stride_w], v[v_in_wi_sshift]
    v_mad_u32_u24 v[v_tmp+1], v[v_in_ihi], s[s_wi], v[v_in_iwi]
    v_mul_lo_u32 v[v_tmp+1], s[s_in_stride_wi], v[v_tmp+1]
    v_add_u32 v[v_in_os], v[v_tmp+1], v[v_co_sub_n_index]
    v_mul_lo_u32 v[v_tmp+1], s[s_in_stride_n], v[v_in_in]
    v_add_u32 v[v_in_os], v[v_tmp+1], v[v_in_os]
    v_cmp_gt_u32 vcc, s[s_n], v[v_in_in]
    v_cndmask_b32 v[v_tmp+1], 0, v[v_in_flag_c], vcc
    v_cmp_gt_u32 vcc, s[s_hi], v[v_in_ihi]
    v_cndmask_b32 v[v_in_flag], 0, v[v_tmp+1], vcc
    v_cmp_gt_u32 vcc, s[s_wi], v[v_in_iwi]
    v_cndmask_b32 v[v_in_flag], 0, v[v_in_flag], vcc
    v_cmpx_le_u32 vcc, 1, v[v_in_flag]
    buffer_store_dword_m v[v_c+2], v[v_in_os], s[s_p_in:s_p_in+3], s[s_tmp] offen offset:0
    s_mov_b64 exec, -1
    v_add_u32 v[v_tmp], 163, v[v_in_inb]
    .mdiv_u32_rem_vs v_tmp+2,v_in_in,v_tmp,s_magic_3,s_shift_m3,s_dim_br,v_tmp+1
    .mdiv_u32_rem_vs v_in_iwi,v_in_ihi,v_tmp+2,s_magic_2,s_shift_m2,s_dslice_w,v_tmp+1
    v_mad_u32_u24 v[v_in_ihi], v[v_in_ihi], s[s_stride_h], v[v_in_hi_sshift]
    v_mad_u32_u24 v[v_in_iwi], v[v_in_iwi], s[s_stride_w], v[v_in_wi_sshift]
    v_mad_u32_u24 v[v_tmp+1], v[v_in_ihi], s[s_wi], v[v_in_iwi]
    v_mul_lo_u32 v[v_tmp+1], s[s_in_stride_wi], v[v_tmp+1]
    v_add_u32 v[v_in_os], v[v_tmp+1], v[v_co_sub_n_index]
    v_mul_lo_u32 v[v_tmp+1], s[s_in_stride_n], v[v_in_in]
    v_add_u32 v[v_in_os], v[v_tmp+1], v[v_in_os]
    v_cmp_gt_u32 vcc, s[s_n], v[v_in_in]
    v_cndmask_b32 v[v_tmp+1], 0, v[v_in_flag_c], vcc
    v_cmp_gt_u32 vcc, s[s_hi], v[v_in_ihi]
    v_cndmask_b32 v[v_in_flag], 0, v[v_tmp+1], vcc
    v_cmp_gt_u32 vcc, s[s_wi], v[v_in_iwi]
    v_cndmask_b32 v[v_in_flag], 0, v[v_in_flag], vcc
    v_cmpx_le_u32 vcc, 1, v[v_in_flag]
    buffer_store_dword_m v[v_c+3], v[v_in_os], s[s_p_in:s_p_in+3], s[s_tmp] offen offset:0
    s_mov_b64 exec, -1
    v_add_u32 v[v_tmp], 176, v[v_in_inb]
    .mdiv_u32_rem_vs v_tmp+2,v_in_in,v_tmp,s_magic_3,s_shift_m3,s_dim_br,v_tmp+1
    .mdiv_u32_rem_vs v_in_iwi,v_in_ihi,v_tmp+2,s_magic_2,s_shift_m2,s_dslice_w,v_tmp+1
    v_mad_u32_u24 v[v_in_ihi], v[v_in_ihi], s[s_stride_h], v[v_in_hi_sshift]
    v_mad_u32_u24 v[v_in_iwi], v[v_in_iwi], s[s_stride_w], v[v_in_wi_sshift]
    v_mad_u32_u24 v[v_tmp+1], v[v_in_ihi], s[s_wi], v[v_in_iwi]
    v_mul_lo_u32 v[v_tmp+1], s[s_in_stride_wi], v[v_tmp+1]
    v_add_u32 v[v_in_os], v[v_tmp+1], v[v_co_sub_n_index]
    v_mul_lo_u32 v[v_tmp+1], s[s_in_stride_n], v[v_in_in]
    v_add_u32 v[v_in_os], v[v_tmp+1], v[v_in_os]
    v_cmp_gt_u32 vcc, s[s_n], v[v_in_in]
    v_cndmask_b32 v[v_tmp+1], 0, v[v_in_flag_c], vcc
    v_cmp_gt_u32 vcc, s[s_hi], v[v_in_ihi]
    v_cndmask_b32 v[v_in_flag], 0, v[v_tmp+1], vcc
    v_cmp_gt_u32 vcc, s[s_wi], v[v_in_iwi]
    v_cndmask_b32 v[v_in_flag], 0, v[v_in_flag], vcc
    s_waitcnt lgkmcnt(2)
    v_cmpx_le_u32 vcc, 1, v[v_in_flag]
    buffer_store_dword_m v[v_c+4], v[v_in_os], s[s_p_in:s_p_in+3], s[s_tmp] offen offset:0
    s_mov_b64 exec, -1
    v_add_u32 v[v_tmp], 177, v[v_in_inb]
    .mdiv_u32_rem_vs v_tmp+2,v_in_in,v_tmp,s_magic_3,s_shift_m3,s_dim_br,v_tmp+1
    .mdiv_u32_rem_vs v_in_iwi,v_in_ihi,v_tmp+2,s_magic_2,s_shift_m2,s_dslice_w,v_tmp+1
    v_mad_u32_u24 v[v_in_ihi], v[v_in_ihi], s[s_stride_h], v[v_in_hi_sshift]
    v_mad_u32_u24 v[v_in_iwi], v[v_in_iwi], s[s_stride_w], v[v_in_wi_sshift]
    v_mad_u32_u24 v[v_tmp+1], v[v_in_ihi], s[s_wi], v[v_in_iwi]
    v_mul_lo_u32 v[v_tmp+1], s[s_in_stride_wi], v[v_tmp+1]
    v_add_u32 v[v_in_os], v[v_tmp+1], v[v_co_sub_n_index]
    v_mul_lo_u32 v[v_tmp+1], s[s_in_stride_n], v[v_in_in]
    v_add_u32 v[v_in_os], v[v_tmp+1], v[v_in_os]
    v_cmp_gt_u32 vcc, s[s_n], v[v_in_in]
    v_cndmask_b32 v[v_tmp+1], 0, v[v_in_flag_c], vcc
    v_cmp_gt_u32 vcc, s[s_hi], v[v_in_ihi]
    v_cndmask_b32 v[v_in_flag], 0, v[v_tmp+1], vcc
    v_cmp_gt_u32 vcc, s[s_wi], v[v_in_iwi]
    v_cndmask_b32 v[v_in_flag], 0, v[v_in_flag], vcc
    v_cmpx_le_u32 vcc, 1, v[v_in_flag]
    buffer_store_dword_m v[v_c+5], v[v_in_os], s[s_p_in:s_p_in+3], s[s_tmp] offen offset:0
    s_mov_b64 exec, -1
    v_add_u32 v[v_tmp], 178, v[v_in_inb]
    .mdiv_u32_rem_vs v_tmp+2,v_in_in,v_tmp,s_magic_3,s_shift_m3,s_dim_br,v_tmp+1
    .mdiv_u32_rem_vs v_in_iwi,v_in_ihi,v_tmp+2,s_magic_2,s_shift_m2,s_dslice_w,v_tmp+1
    v_mad_u32_u24 v[v_in_ihi], v[v_in_ihi], s[s_stride_h], v[v_in_hi_sshift]
    v_mad_u32_u24 v[v_in_iwi], v[v_in_iwi], s[s_stride_w], v[v_in_wi_sshift]
    v_mad_u32_u24 v[v_tmp+1], v[v_in_ihi], s[s_wi], v[v_in_iwi]
    v_mul_lo_u32 v[v_tmp+1], s[s_in_stride_wi], v[v_tmp+1]
    v_add_u32 v[v_in_os], v[v_tmp+1], v[v_co_sub_n_index]
    v_mul_lo_u32 v[v_tmp+1], s[s_in_stride_n], v[v_in_in]
    v_add_u32 v[v_in_os], v[v_tmp+1], v[v_in_os]
    v_cmp_gt_u32 vcc, s[s_n], v[v_in_in]
    v_cndmask_b32 v[v_tmp+1], 0, v[v_in_flag_c], vcc
    v_cmp_gt_u32 vcc, s[s_hi], v[v_in_ihi]
    v_cndmask_b32 v[v_in_flag], 0, v[v_tmp+1], vcc
    v_cmp_gt_u32 vcc, s[s_wi], v[v_in_iwi]
    v_cndmask_b32 v[v_in_flag], 0, v[v_in_flag], vcc
    v_cmpx_le_u32 vcc, 1, v[v_in_flag]
    buffer_store_dword_m v[v_c+6], v[v_in_os], s[s_p_in:s_p_in+3], s[s_tmp] offen offset:0
    s_mov_b64 exec, -1
    v_add_u32 v[v_tmp], 179, v[v_in_inb]
    .mdiv_u32_rem_vs v_tmp+2,v_in_in,v_tmp,s_magic_3,s_shift_m3,s_dim_br,v_tmp+1
    .mdiv_u32_rem_vs v_in_iwi,v_in_ihi,v_tmp+2,s_magic_2,s_shift_m2,s_dslice_w,v_tmp+1
    v_mad_u32_u24 v[v_in_ihi], v[v_in_ihi], s[s_stride_h], v[v_in_hi_sshift]
    v_mad_u32_u24 v[v_in_iwi], v[v_in_iwi], s[s_stride_w], v[v_in_wi_sshift]
    v_mad_u32_u24 v[v_tmp+1], v[v_in_ihi], s[s_wi], v[v_in_iwi]
    v_mul_lo_u32 v[v_tmp+1], s[s_in_stride_wi], v[v_tmp+1]
    v_add_u32 v[v_in_os], v[v_tmp+1], v[v_co_sub_n_index]
    v_mul_lo_u32 v[v_tmp+1], s[s_in_stride_n], v[v_in_in]
    v_add_u32 v[v_in_os], v[v_tmp+1], v[v_in_os]
    v_cmp_gt_u32 vcc, s[s_n], v[v_in_in]
    v_cndmask_b32 v[v_tmp+1], 0, v[v_in_flag_c], vcc
    v_cmp_gt_u32 vcc, s[s_hi], v[v_in_ihi]
    v_cndmask_b32 v[v_in_flag], 0, v[v_tmp+1], vcc
    v_cmp_gt_u32 vcc, s[s_wi], v[v_in_iwi]
    v_cndmask_b32 v[v_in_flag], 0, v[v_in_flag], vcc
    v_cmpx_le_u32 vcc, 1, v[v_in_flag]
    buffer_store_dword_m v[v_c+7], v[v_in_os], s[s_p_in:s_p_in+3], s[s_tmp] offen offset:0
    s_mov_b64 exec, -1
    v_add_u32 v[v_tmp], 224, v[v_in_inb]
    .mdiv_u32_rem_vs v_tmp+2,v_in_in,v_tmp,s_magic_3,s_shift_m3,s_dim_br,v_tmp+1
    .mdiv_u32_rem_vs v_in_iwi,v_in_ihi,v_tmp+2,s_magic_2,s_shift_m2,s_dslice_w,v_tmp+1
    v_mad_u32_u24 v[v_in_ihi], v[v_in_ihi], s[s_stride_h], v[v_in_hi_sshift]
    v_mad_u32_u24 v[v_in_iwi], v[v_in_iwi], s[s_stride_w], v[v_in_wi_sshift]
    v_mad_u32_u24 v[v_tmp+1], v[v_in_ihi], s[s_wi], v[v_in_iwi]
    v_mul_lo_u32 v[v_tmp+1], s[s_in_stride_wi], v[v_tmp+1]
    v_add_u32 v[v_in_os], v[v_tmp+1], v[v_co_sub_n_index]
    v_mul_lo_u32 v[v_tmp+1], s[s_in_stride_n], v[v_in_in]
    v_add_u32 v[v_in_os], v[v_tmp+1], v[v_in_os]
    v_cmp_gt_u32 vcc, s[s_n], v[v_in_in]
    v_cndmask_b32 v[v_tmp+1], 0, v[v_in_flag_c], vcc
    v_cmp_gt_u32 vcc, s[s_hi], v[v_in_ihi]
    v_cndmask_b32 v[v_in_flag], 0, v[v_tmp+1], vcc
    v_cmp_gt_u32 vcc, s[s_wi], v[v_in_iwi]
    v_cndmask_b32 v[v_in_flag], 0, v[v_in_flag], vcc
    s_waitcnt lgkmcnt(1)
    v_cmpx_le_u32 vcc, 1, v[v_in_flag]
    buffer_store_dword_m v[v_c+8], v[v_in_os], s[s_p_in:s_p_in+3], s[s_tmp] offen offset:0
    s_mov_b64 exec, -1
    v_add_u32 v[v_tmp], 225, v[v_in_inb]
    .mdiv_u32_rem_vs v_tmp+2,v_in_in,v_tmp,s_magic_3,s_shift_m3,s_dim_br,v_tmp+1
    .mdiv_u32_rem_vs v_in_iwi,v_in_ihi,v_tmp+2,s_magic_2,s_shift_m2,s_dslice_w,v_tmp+1
    v_mad_u32_u24 v[v_in_ihi], v[v_in_ihi], s[s_stride_h], v[v_in_hi_sshift]
    v_mad_u32_u24 v[v_in_iwi], v[v_in_iwi], s[s_stride_w], v[v_in_wi_sshift]
    v_mad_u32_u24 v[v_tmp+1], v[v_in_ihi], s[s_wi], v[v_in_iwi]
    v_mul_lo_u32 v[v_tmp+1], s[s_in_stride_wi], v[v_tmp+1]
    v_add_u32 v[v_in_os], v[v_tmp+1], v[v_co_sub_n_index]
    v_mul_lo_u32 v[v_tmp+1], s[s_in_stride_n], v[v_in_in]
    v_add_u32 v[v_in_os], v[v_tmp+1], v[v_in_os]
    v_cmp_gt_u32 vcc, s[s_n], v[v_in_in]
    v_cndmask_b32 v[v_tmp+1], 0, v[v_in_flag_c], vcc
    v_cmp_gt_u32 vcc, s[s_hi], v[v_in_ihi]
    v_cndmask_b32 v[v_in_flag], 0, v[v_tmp+1], vcc
    v_cmp_gt_u32 vcc, s[s_wi], v[v_in_iwi]
    v_cndmask_b32 v[v_in_flag], 0, v[v_in_flag], vcc
    v_cmpx_le_u32 vcc, 1, v[v_in_flag]
    buffer_store_dword_m v[v_c+9], v[v_in_os], s[s_p_in:s_p_in+3], s[s_tmp] offen offset:0
    s_mov_b64 exec, -1
    v_add_u32 v[v_tmp], 226, v[v_in_inb]
    .mdiv_u32_rem_vs v_tmp+2,v_in_in,v_tmp,s_magic_3,s_shift_m3,s_dim_br,v_tmp+1
    .mdiv_u32_rem_vs v_in_iwi,v_in_ihi,v_tmp+2,s_magic_2,s_shift_m2,s_dslice_w,v_tmp+1
    v_mad_u32_u24 v[v_in_ihi], v[v_in_ihi], s[s_stride_h], v[v_in_hi_sshift]
    v_mad_u32_u24 v[v_in_iwi], v[v_in_iwi], s[s_stride_w], v[v_in_wi_sshift]
    v_mad_u32_u24 v[v_tmp+1], v[v_in_ihi], s[s_wi], v[v_in_iwi]
    v_mul_lo_u32 v[v_tmp+1], s[s_in_stride_wi], v[v_tmp+1]
    v_add_u32 v[v_in_os], v[v_tmp+1], v[v_co_sub_n_index]
    v_mul_lo_u32 v[v_tmp+1], s[s_in_stride_n], v[v_in_in]
    v_add_u32 v[v_in_os], v[v_tmp+1], v[v_in_os]
    v_cmp_gt_u32 vcc, s[s_n], v[v_in_in]
    v_cndmask_b32 v[v_tmp+1], 0, v[v_in_flag_c], vcc
    v_cmp_gt_u32 vcc, s[s_hi], v[v_in_ihi]
    v_cndmask_b32 v[v_in_flag], 0, v[v_tmp+1], vcc
    v_cmp_gt_u32 vcc, s[s_wi], v[v_in_iwi]
    v_cndmask_b32 v[v_in_flag], 0, v[v_in_flag], vcc
    v_cmpx_le_u32 vcc, 1, v[v_in_flag]
    buffer_store_dword_m v[v_c+10], v[v_in_os], s[s_p_in:s_p_in+3], s[s_tmp] offen offset:0
    s_mov_b64 exec, -1
    v_add_u32 v[v_tmp], 227, v[v_in_inb]
    .mdiv_u32_rem_vs v_tmp+2,v_in_in,v_tmp,s_magic_3,s_shift_m3,s_dim_br,v_tmp+1
    .mdiv_u32_rem_vs v_in_iwi,v_in_ihi,v_tmp+2,s_magic_2,s_shift_m2,s_dslice_w,v_tmp+1
    v_mad_u32_u24 v[v_in_ihi], v[v_in_ihi], s[s_stride_h], v[v_in_hi_sshift]
    v_mad_u32_u24 v[v_in_iwi], v[v_in_iwi], s[s_stride_w], v[v_in_wi_sshift]
    v_mad_u32_u24 v[v_tmp+1], v[v_in_ihi], s[s_wi], v[v_in_iwi]
    v_mul_lo_u32 v[v_tmp+1], s[s_in_stride_wi], v[v_tmp+1]
    v_add_u32 v[v_in_os], v[v_tmp+1], v[v_co_sub_n_index]
    v_mul_lo_u32 v[v_tmp+1], s[s_in_stride_n], v[v_in_in]
    v_add_u32 v[v_in_os], v[v_tmp+1], v[v_in_os]
    v_cmp_gt_u32 vcc, s[s_n], v[v_in_in]
    v_cndmask_b32 v[v_tmp+1], 0, v[v_in_flag_c], vcc
    v_cmp_gt_u32 vcc, s[s_hi], v[v_in_ihi]
    v_cndmask_b32 v[v_in_flag], 0, v[v_tmp+1], vcc
    v_cmp_gt_u32 vcc, s[s_wi], v[v_in_iwi]
    v_cndmask_b32 v[v_in_flag], 0, v[v_in_flag], vcc
    v_cmpx_le_u32 vcc, 1, v[v_in_flag]
    buffer_store_dword_m v[v_c+11], v[v_in_os], s[s_p_in:s_p_in+3], s[s_tmp] offen offset:0
    s_mov_b64 exec, -1
    v_add_u32 v[v_tmp], 240, v[v_in_inb]
    .mdiv_u32_rem_vs v_tmp+2,v_in_in,v_tmp,s_magic_3,s_shift_m3,s_dim_br,v_tmp+1
    .mdiv_u32_rem_vs v_in_iwi,v_in_ihi,v_tmp+2,s_magic_2,s_shift_m2,s_dslice_w,v_tmp+1
    v_mad_u32_u24 v[v_in_ihi], v[v_in_ihi], s[s_stride_h], v[v_in_hi_sshift]
    v_mad_u32_u24 v[v_in_iwi], v[v_in_iwi], s[s_stride_w], v[v_in_wi_sshift]
    v_mad_u32_u24 v[v_tmp+1], v[v_in_ihi], s[s_wi], v[v_in_iwi]
    v_mul_lo_u32 v[v_tmp+1], s[s_in_stride_wi], v[v_tmp+1]
    v_add_u32 v[v_in_os], v[v_tmp+1], v[v_co_sub_n_index]
    v_mul_lo_u32 v[v_tmp+1], s[s_in_stride_n], v[v_in_in]
    v_add_u32 v[v_in_os], v[v_tmp+1], v[v_in_os]
    v_cmp_gt_u32 vcc, s[s_n], v[v_in_in]
    v_cndmask_b32 v[v_tmp+1], 0, v[v_in_flag_c], vcc
    v_cmp_gt_u32 vcc, s[s_hi], v[v_in_ihi]
    v_cndmask_b32 v[v_in_flag], 0, v[v_tmp+1], vcc
    v_cmp_gt_u32 vcc, s[s_wi], v[v_in_iwi]
    v_cndmask_b32 v[v_in_flag], 0, v[v_in_flag], vcc
    s_waitcnt lgkmcnt(0)
    v_cmpx_le_u32 vcc, 1, v[v_in_flag]
    buffer_store_dword_m v[v_c+12], v[v_in_os], s[s_p_in:s_p_in+3], s[s_tmp] offen offset:0
    s_mov_b64 exec, -1
    v_add_u32 v[v_tmp], 241, v[v_in_inb]
    .mdiv_u32_rem_vs v_tmp+2,v_in_in,v_tmp,s_magic_3,s_shift_m3,s_dim_br,v_tmp+1
    .mdiv_u32_rem_vs v_in_iwi,v_in_ihi,v_tmp+2,s_magic_2,s_shift_m2,s_dslice_w,v_tmp+1
    v_mad_u32_u24 v[v_in_ihi], v[v_in_ihi], s[s_stride_h], v[v_in_hi_sshift]
    v_mad_u32_u24 v[v_in_iwi], v[v_in_iwi], s[s_stride_w], v[v_in_wi_sshift]
    v_mad_u32_u24 v[v_tmp+1], v[v_in_ihi], s[s_wi], v[v_in_iwi]
    v_mul_lo_u32 v[v_tmp+1], s[s_in_stride_wi], v[v_tmp+1]
    v_add_u32 v[v_in_os], v[v_tmp+1], v[v_co_sub_n_index]
    v_mul_lo_u32 v[v_tmp+1], s[s_in_stride_n], v[v_in_in]
    v_add_u32 v[v_in_os], v[v_tmp+1], v[v_in_os]
    v_cmp_gt_u32 vcc, s[s_n], v[v_in_in]
    v_cndmask_b32 v[v_tmp+1], 0, v[v_in_flag_c], vcc
    v_cmp_gt_u32 vcc, s[s_hi], v[v_in_ihi]
    v_cndmask_b32 v[v_in_flag], 0, v[v_tmp+1], vcc
    v_cmp_gt_u32 vcc, s[s_wi], v[v_in_iwi]
    v_cndmask_b32 v[v_in_flag], 0, v[v_in_flag], vcc
    v_cmpx_le_u32 vcc, 1, v[v_in_flag]
    buffer_store_dword_m v[v_c+13], v[v_in_os], s[s_p_in:s_p_in+3], s[s_tmp] offen offset:0
    s_mov_b64 exec, -1
    v_add_u32 v[v_tmp], 242, v[v_in_inb]
    .mdiv_u32_rem_vs v_tmp+2,v_in_in,v_tmp,s_magic_3,s_shift_m3,s_dim_br,v_tmp+1
    .mdiv_u32_rem_vs v_in_iwi,v_in_ihi,v_tmp+2,s_magic_2,s_shift_m2,s_dslice_w,v_tmp+1
    v_mad_u32_u24 v[v_in_ihi], v[v_in_ihi], s[s_stride_h], v[v_in_hi_sshift]
    v_mad_u32_u24 v[v_in_iwi], v[v_in_iwi], s[s_stride_w], v[v_in_wi_sshift]
    v_mad_u32_u24 v[v_tmp+1], v[v_in_ihi], s[s_wi], v[v_in_iwi]
    v_mul_lo_u32 v[v_tmp+1], s[s_in_stride_wi], v[v_tmp+1]
    v_add_u32 v[v_in_os], v[v_tmp+1], v[v_co_sub_n_index]
    v_mul_lo_u32 v[v_tmp+1], s[s_in_stride_n], v[v_in_in]
    v_add_u32 v[v_in_os], v[v_tmp+1], v[v_in_os]
    v_cmp_gt_u32 vcc, s[s_n], v[v_in_in]
    v_cndmask_b32 v[v_tmp+1], 0, v[v_in_flag_c], vcc
    v_cmp_gt_u32 vcc, s[s_hi], v[v_in_ihi]
    v_cndmask_b32 v[v_in_flag], 0, v[v_tmp+1], vcc
    v_cmp_gt_u32 vcc, s[s_wi], v[v_in_iwi]
    v_cndmask_b32 v[v_in_flag], 0, v[v_in_flag], vcc
    v_cmpx_le_u32 vcc, 1, v[v_in_flag]
    buffer_store_dword_m v[v_c+14], v[v_in_os], s[s_p_in:s_p_in+3], s[s_tmp] offen offset:0
    s_mov_b64 exec, -1
    v_add_u32 v[v_tmp], 243, v[v_in_inb]
    .mdiv_u32_rem_vs v_tmp+2,v_in_in,v_tmp,s_magic_3,s_shift_m3,s_dim_br,v_tmp+1
    .mdiv_u32_rem_vs v_in_iwi,v_in_ihi,v_tmp+2,s_magic_2,s_shift_m2,s_dslice_w,v_tmp+1
    v_mad_u32_u24 v[v_in_ihi], v[v_in_ihi], s[s_stride_h], v[v_in_hi_sshift]
    v_mad_u32_u24 v[v_in_iwi], v[v_in_iwi], s[s_stride_w], v[v_in_wi_sshift]
    v_mad_u32_u24 v[v_tmp+1], v[v_in_ihi], s[s_wi], v[v_in_iwi]
    v_mul_lo_u32 v[v_tmp+1], s[s_in_stride_wi], v[v_tmp+1]
    v_add_u32 v[v_in_os], v[v_tmp+1], v[v_co_sub_n_index]
    v_mul_lo_u32 v[v_tmp+1], s[s_in_stride_n], v[v_in_in]
    v_add_u32 v[v_in_os], v[v_tmp+1], v[v_in_os]
    v_cmp_gt_u32 vcc, s[s_n], v[v_in_in]
    v_cndmask_b32 v[v_tmp+1], 0, v[v_in_flag_c], vcc
    v_cmp_gt_u32 vcc, s[s_hi], v[v_in_ihi]
    v_cndmask_b32 v[v_in_flag], 0, v[v_tmp+1], vcc
    v_cmp_gt_u32 vcc, s[s_wi], v[v_in_iwi]
    v_cndmask_b32 v[v_in_flag], 0, v[v_in_flag], vcc
    v_cmpx_le_u32 vcc, 1, v[v_in_flag]
    buffer_store_dword_m v[v_c+15], v[v_in_os], s[s_p_in:s_p_in+3], s[s_tmp] offen offset:0
    s_mov_b64 exec, -1
L_igemm_bwd_gtcx35_nhwc_fp32_bx0_ex1_bt256x32x4_wt64x32x1_ws1x1_wr2x1_ta1x1x8x1_1x4x1x32_tb1x1x1x1_1x4x1x32_mh_me_out:
    s_endpgm
.rodata
.p2align 6
.amdhsa_kernel igemm_bwd_gtcx35_nhwc_fp32_bx0_ex1_bt256x32x4_wt64x32x1_ws1x1_wr2x1_ta1x1x8x1_1x4x1x32_tb1x1x1x1_1x4x1x32_mh_me
    .amdhsa_group_segment_fixed_size 8192
    .amdhsa_user_sgpr_kernarg_segment_ptr 1
    .amdhsa_system_sgpr_workgroup_id_x 1
    .amdhsa_system_sgpr_workgroup_id_y 1
    .amdhsa_system_vgpr_workitem_id 0
    .amdhsa_next_free_vgpr 140
    .amdhsa_next_free_sgpr 82
    .amdhsa_ieee_mode 1
    .amdhsa_dx10_clamp 1
    .amdhsa_float_round_mode_32 3
    .amdhsa_float_round_mode_16_64 3
    .amdhsa_tg_split 0
    .amdhsa_accum_offset 76
.end_amdhsa_kernel

.amdgpu_metadata
---
amdhsa.version: [ 1, 0 ]
amdhsa.kernels:
  - .name: igemm_bwd_gtcx35_nhwc_fp32_bx0_ex1_bt256x32x4_wt64x32x1_ws1x1_wr2x1_ta1x1x8x1_1x4x1x32_tb1x1x1x1_1x4x1x32_mh_me
    .symbol: igemm_bwd_gtcx35_nhwc_fp32_bx0_ex1_bt256x32x4_wt64x32x1_ws1x1_wr2x1_ta1x1x8x1_1x4x1x32_tb1x1x1x1_1x4x1x32_mh_me.kd
    .sgpr_count: 88
    .vgpr_count: 140
    .kernarg_segment_align: 8
    .kernarg_segment_size: 168
    .group_segment_fixed_size: 8192
    .private_segment_fixed_size: 0
    .wavefront_size: 64
    .reqd_workgroup_size : [128, 1, 1]
    .max_flat_workgroup_size: 128
    .args:
    - { .name: p_in_     , .size: 8, .offset:   0, .value_kind: global_buffer, .value_type: f32, .address_space: global, .is_const: false}
    - { .name: p_wei_    , .size: 8, .offset:   8, .value_kind: global_buffer, .value_type: f32, .address_space: global, .is_const: true}
    - { .name: p_out_    , .size: 8, .offset:  16, .value_kind: global_buffer, .value_type: f32, .address_space: global, .is_const: true}
    - { .name: hi_       , .size: 4, .offset:  24, .value_kind: by_value, .value_type: i32}
    - { .name: wi_       , .size: 4, .offset:  28, .value_kind: by_value, .value_type: i32}
    - { .name: n_        , .size: 4, .offset:  32, .value_kind: by_value, .value_type: i32}
    - { .name: k_        , .size: 4, .offset:  36, .value_kind: by_value, .value_type: i32}
    - { .name: c_        , .size: 4, .offset:  40, .value_kind: by_value, .value_type: i32}
    - { .name: ho_       , .size: 4, .offset:  44, .value_kind: by_value, .value_type: i32}
    - { .name: wo_       , .size: 4, .offset:  48, .value_kind: by_value, .value_type: i32}
    - { .name: stride_h_ , .size: 4, .offset:  52, .value_kind: by_value, .value_type: i32}
    - { .name: stride_w_ , .size: 4, .offset:  56, .value_kind: by_value, .value_type: i32}
    - { .name: dilation_h_, .size: 4, .offset:  60, .value_kind: by_value, .value_type: i32}
    - { .name: dilation_w_, .size: 4, .offset:  64, .value_kind: by_value, .value_type: i32}
    - { .name: pad_h_    , .size: 4, .offset:  68, .value_kind: by_value, .value_type: i32}
    - { .name: pad_w_    , .size: 4, .offset:  72, .value_kind: by_value, .value_type: i32}
    - { .name: y_        , .size: 4, .offset:  76, .value_kind: by_value, .value_type: i32}
    - { .name: x_        , .size: 4, .offset:  80, .value_kind: by_value, .value_type: i32}
    - { .name: dtile_iy_ , .size: 4, .offset:  84, .value_kind: by_value, .value_type: i32}
    - { .name: dtile_ix_ , .size: 4, .offset:  88, .value_kind: by_value, .value_type: i32}
    - { .name: dtile_dy_ , .size: 4, .offset:  92, .value_kind: by_value, .value_type: i32}
    - { .name: dtile_dx_ , .size: 4, .offset:  96, .value_kind: by_value, .value_type: i32}
    - { .name: dtile_y_  , .size: 4, .offset: 100, .value_kind: by_value, .value_type: i32}
    - { .name: dtile_x_  , .size: 4, .offset: 104, .value_kind: by_value, .value_type: i32}
    - { .name: dtile_h_  , .size: 4, .offset: 108, .value_kind: by_value, .value_type: i32}
    - { .name: dtile_w_  , .size: 4, .offset: 112, .value_kind: by_value, .value_type: i32}
    - { .name: dslice_y_ , .size: 4, .offset: 116, .value_kind: by_value, .value_type: i32}
    - { .name: dslice_x_ , .size: 4, .offset: 120, .value_kind: by_value, .value_type: i32}
    - { .name: dslice_h_ , .size: 4, .offset: 124, .value_kind: by_value, .value_type: i32}
    - { .name: dslice_w_ , .size: 4, .offset: 128, .value_kind: by_value, .value_type: i32}
    - { .name: dslice_h_left_, .size: 4, .offset: 132, .value_kind: by_value, .value_type: i32}
    - { .name: dslice_w_left_, .size: 4, .offset: 136, .value_kind: by_value, .value_type: i32}
    - { .name: group_    , .size: 4, .offset: 140, .value_kind: by_value, .value_type: i32}
    - { .name: magic_0_  , .size: 4, .offset: 144, .value_kind: by_value, .value_type: i32}
    - { .name: magic_1_  , .size: 4, .offset: 148, .value_kind: by_value, .value_type: i32}
    - { .name: magic_2_  , .size: 4, .offset: 152, .value_kind: by_value, .value_type: i32}
    - { .name: magic_3_  , .size: 4, .offset: 156, .value_kind: by_value, .value_type: i32}
    - { .name: shift_pack_0_, .size: 4, .offset: 160, .value_kind: by_value, .value_type: i32}
    - { .name: ks_       , .size: 4, .offset: 164, .value_kind: by_value, .value_type: i32}
...
.end_amdgpu_metadata
